;; amdgpu-corpus repo=ROCm/rocFFT kind=compiled arch=gfx906 opt=O3
	.text
	.amdgcn_target "amdgcn-amd-amdhsa--gfx906"
	.amdhsa_code_object_version 6
	.protected	fft_rtc_fwd_len918_factors_17_9_2_3_wgs_102_tpt_102_halfLds_half_op_CI_CI_unitstride_sbrr_C2R_dirReg ; -- Begin function fft_rtc_fwd_len918_factors_17_9_2_3_wgs_102_tpt_102_halfLds_half_op_CI_CI_unitstride_sbrr_C2R_dirReg
	.globl	fft_rtc_fwd_len918_factors_17_9_2_3_wgs_102_tpt_102_halfLds_half_op_CI_CI_unitstride_sbrr_C2R_dirReg
	.p2align	8
	.type	fft_rtc_fwd_len918_factors_17_9_2_3_wgs_102_tpt_102_halfLds_half_op_CI_CI_unitstride_sbrr_C2R_dirReg,@function
fft_rtc_fwd_len918_factors_17_9_2_3_wgs_102_tpt_102_halfLds_half_op_CI_CI_unitstride_sbrr_C2R_dirReg: ; @fft_rtc_fwd_len918_factors_17_9_2_3_wgs_102_tpt_102_halfLds_half_op_CI_CI_unitstride_sbrr_C2R_dirReg
; %bb.0:
	s_load_dwordx4 s[8:11], s[4:5], 0x58
	s_load_dwordx4 s[12:15], s[4:5], 0x0
	;; [unrolled: 1-line block ×3, first 2 shown]
	v_mul_u32_u24_e32 v1, 0x283, v0
	v_mov_b32_e32 v8, 0
	v_mov_b32_e32 v6, 0
	s_waitcnt lgkmcnt(0)
	v_cmp_lt_u64_e64 s[0:1], s[14:15], 2
	v_add_u32_sdwa v10, s6, v1 dst_sel:DWORD dst_unused:UNUSED_PAD src0_sel:DWORD src1_sel:WORD_1
	v_mov_b32_e32 v11, v8
	s_and_b64 vcc, exec, s[0:1]
	v_mov_b32_e32 v7, 0
	s_cbranch_vccnz .LBB0_8
; %bb.1:
	s_load_dwordx2 s[0:1], s[4:5], 0x10
	s_add_u32 s2, s18, 8
	s_addc_u32 s3, s19, 0
	s_add_u32 s6, s16, 8
	s_addc_u32 s7, s17, 0
	v_mov_b32_e32 v6, 0
	s_waitcnt lgkmcnt(0)
	s_add_u32 s20, s0, 8
	v_mov_b32_e32 v7, 0
	v_mov_b32_e32 v1, v6
	s_addc_u32 s21, s1, 0
	s_mov_b64 s[22:23], 1
	v_mov_b32_e32 v2, v7
.LBB0_2:                                ; =>This Inner Loop Header: Depth=1
	s_load_dwordx2 s[24:25], s[20:21], 0x0
                                        ; implicit-def: $vgpr3_vgpr4
	s_waitcnt lgkmcnt(0)
	v_or_b32_e32 v9, s25, v11
	v_cmp_ne_u64_e32 vcc, 0, v[8:9]
	s_and_saveexec_b64 s[0:1], vcc
	s_xor_b64 s[26:27], exec, s[0:1]
	s_cbranch_execz .LBB0_4
; %bb.3:                                ;   in Loop: Header=BB0_2 Depth=1
	v_cvt_f32_u32_e32 v3, s24
	v_cvt_f32_u32_e32 v4, s25
	s_sub_u32 s0, 0, s24
	s_subb_u32 s1, 0, s25
	v_mac_f32_e32 v3, 0x4f800000, v4
	v_rcp_f32_e32 v3, v3
	v_mul_f32_e32 v3, 0x5f7ffffc, v3
	v_mul_f32_e32 v4, 0x2f800000, v3
	v_trunc_f32_e32 v4, v4
	v_mac_f32_e32 v3, 0xcf800000, v4
	v_cvt_u32_f32_e32 v4, v4
	v_cvt_u32_f32_e32 v3, v3
	v_mul_lo_u32 v5, s0, v4
	v_mul_hi_u32 v9, s0, v3
	v_mul_lo_u32 v13, s1, v3
	v_mul_lo_u32 v12, s0, v3
	v_add_u32_e32 v5, v9, v5
	v_add_u32_e32 v5, v5, v13
	v_mul_hi_u32 v9, v3, v12
	v_mul_lo_u32 v13, v3, v5
	v_mul_hi_u32 v15, v3, v5
	v_mul_hi_u32 v14, v4, v12
	v_mul_lo_u32 v12, v4, v12
	v_mul_hi_u32 v16, v4, v5
	v_add_co_u32_e32 v9, vcc, v9, v13
	v_addc_co_u32_e32 v13, vcc, 0, v15, vcc
	v_mul_lo_u32 v5, v4, v5
	v_add_co_u32_e32 v9, vcc, v9, v12
	v_addc_co_u32_e32 v9, vcc, v13, v14, vcc
	v_addc_co_u32_e32 v12, vcc, 0, v16, vcc
	v_add_co_u32_e32 v5, vcc, v9, v5
	v_addc_co_u32_e32 v9, vcc, 0, v12, vcc
	v_add_co_u32_e32 v3, vcc, v3, v5
	v_addc_co_u32_e32 v4, vcc, v4, v9, vcc
	v_mul_lo_u32 v5, s0, v4
	v_mul_hi_u32 v9, s0, v3
	v_mul_lo_u32 v12, s1, v3
	v_mul_lo_u32 v13, s0, v3
	v_add_u32_e32 v5, v9, v5
	v_add_u32_e32 v5, v5, v12
	v_mul_lo_u32 v14, v3, v5
	v_mul_hi_u32 v15, v3, v13
	v_mul_hi_u32 v16, v3, v5
	v_mul_hi_u32 v12, v4, v13
	v_mul_lo_u32 v13, v4, v13
	v_mul_hi_u32 v9, v4, v5
	v_add_co_u32_e32 v14, vcc, v15, v14
	v_addc_co_u32_e32 v15, vcc, 0, v16, vcc
	v_mul_lo_u32 v5, v4, v5
	v_add_co_u32_e32 v13, vcc, v14, v13
	v_addc_co_u32_e32 v12, vcc, v15, v12, vcc
	v_addc_co_u32_e32 v9, vcc, 0, v9, vcc
	v_add_co_u32_e32 v5, vcc, v12, v5
	v_addc_co_u32_e32 v9, vcc, 0, v9, vcc
	v_add_co_u32_e32 v5, vcc, v3, v5
	v_addc_co_u32_e32 v9, vcc, v4, v9, vcc
	v_mad_u64_u32 v[3:4], s[0:1], v10, v9, 0
	v_mul_hi_u32 v12, v10, v5
	v_add_co_u32_e32 v14, vcc, v12, v3
	v_addc_co_u32_e32 v15, vcc, 0, v4, vcc
	v_mad_u64_u32 v[3:4], s[0:1], v11, v5, 0
	v_mad_u64_u32 v[12:13], s[0:1], v11, v9, 0
	v_add_co_u32_e32 v3, vcc, v14, v3
	v_addc_co_u32_e32 v3, vcc, v15, v4, vcc
	v_addc_co_u32_e32 v4, vcc, 0, v13, vcc
	v_add_co_u32_e32 v5, vcc, v3, v12
	v_addc_co_u32_e32 v9, vcc, 0, v4, vcc
	v_mul_lo_u32 v12, s25, v5
	v_mul_lo_u32 v13, s24, v9
	v_mad_u64_u32 v[3:4], s[0:1], s24, v5, 0
	v_add3_u32 v4, v4, v13, v12
	v_sub_u32_e32 v12, v11, v4
	v_mov_b32_e32 v13, s25
	v_sub_co_u32_e32 v3, vcc, v10, v3
	v_subb_co_u32_e64 v12, s[0:1], v12, v13, vcc
	v_subrev_co_u32_e64 v13, s[0:1], s24, v3
	v_subbrev_co_u32_e64 v12, s[0:1], 0, v12, s[0:1]
	v_cmp_le_u32_e64 s[0:1], s25, v12
	v_cndmask_b32_e64 v14, 0, -1, s[0:1]
	v_cmp_le_u32_e64 s[0:1], s24, v13
	v_cndmask_b32_e64 v13, 0, -1, s[0:1]
	v_cmp_eq_u32_e64 s[0:1], s25, v12
	v_cndmask_b32_e64 v12, v14, v13, s[0:1]
	v_add_co_u32_e64 v13, s[0:1], 2, v5
	v_addc_co_u32_e64 v14, s[0:1], 0, v9, s[0:1]
	v_add_co_u32_e64 v15, s[0:1], 1, v5
	v_addc_co_u32_e64 v16, s[0:1], 0, v9, s[0:1]
	v_subb_co_u32_e32 v4, vcc, v11, v4, vcc
	v_cmp_ne_u32_e64 s[0:1], 0, v12
	v_cmp_le_u32_e32 vcc, s25, v4
	v_cndmask_b32_e64 v12, v16, v14, s[0:1]
	v_cndmask_b32_e64 v14, 0, -1, vcc
	v_cmp_le_u32_e32 vcc, s24, v3
	v_cndmask_b32_e64 v3, 0, -1, vcc
	v_cmp_eq_u32_e32 vcc, s25, v4
	v_cndmask_b32_e32 v3, v14, v3, vcc
	v_cmp_ne_u32_e32 vcc, 0, v3
	v_cndmask_b32_e64 v3, v15, v13, s[0:1]
	v_cndmask_b32_e32 v4, v9, v12, vcc
	v_cndmask_b32_e32 v3, v5, v3, vcc
.LBB0_4:                                ;   in Loop: Header=BB0_2 Depth=1
	s_andn2_saveexec_b64 s[0:1], s[26:27]
	s_cbranch_execz .LBB0_6
; %bb.5:                                ;   in Loop: Header=BB0_2 Depth=1
	v_cvt_f32_u32_e32 v3, s24
	s_sub_i32 s26, 0, s24
	v_rcp_iflag_f32_e32 v3, v3
	v_mul_f32_e32 v3, 0x4f7ffffe, v3
	v_cvt_u32_f32_e32 v3, v3
	v_mul_lo_u32 v4, s26, v3
	v_mul_hi_u32 v4, v3, v4
	v_add_u32_e32 v3, v3, v4
	v_mul_hi_u32 v3, v10, v3
	v_mul_lo_u32 v4, v3, s24
	v_add_u32_e32 v5, 1, v3
	v_sub_u32_e32 v4, v10, v4
	v_subrev_u32_e32 v9, s24, v4
	v_cmp_le_u32_e32 vcc, s24, v4
	v_cndmask_b32_e32 v4, v4, v9, vcc
	v_cndmask_b32_e32 v3, v3, v5, vcc
	v_add_u32_e32 v5, 1, v3
	v_cmp_le_u32_e32 vcc, s24, v4
	v_cndmask_b32_e32 v3, v3, v5, vcc
	v_mov_b32_e32 v4, v8
.LBB0_6:                                ;   in Loop: Header=BB0_2 Depth=1
	s_or_b64 exec, exec, s[0:1]
	v_mul_lo_u32 v5, v4, s24
	v_mul_lo_u32 v9, v3, s25
	v_mad_u64_u32 v[12:13], s[0:1], v3, s24, 0
	s_load_dwordx2 s[0:1], s[6:7], 0x0
	s_load_dwordx2 s[24:25], s[2:3], 0x0
	v_add3_u32 v5, v13, v9, v5
	v_sub_co_u32_e32 v9, vcc, v10, v12
	v_subb_co_u32_e32 v5, vcc, v11, v5, vcc
	s_waitcnt lgkmcnt(0)
	v_mul_lo_u32 v10, s0, v5
	v_mul_lo_u32 v11, s1, v9
	v_mad_u64_u32 v[6:7], s[0:1], s0, v9, v[6:7]
	s_add_u32 s22, s22, 1
	s_addc_u32 s23, s23, 0
	s_add_u32 s2, s2, 8
	v_mul_lo_u32 v5, s24, v5
	v_mul_lo_u32 v12, s25, v9
	v_mad_u64_u32 v[1:2], s[0:1], s24, v9, v[1:2]
	v_add3_u32 v7, v11, v7, v10
	s_addc_u32 s3, s3, 0
	v_mov_b32_e32 v9, s14
	s_add_u32 s6, s6, 8
	v_mov_b32_e32 v10, s15
	s_addc_u32 s7, s7, 0
	v_cmp_ge_u64_e32 vcc, s[22:23], v[9:10]
	s_add_u32 s20, s20, 8
	v_add3_u32 v2, v12, v2, v5
	s_addc_u32 s21, s21, 0
	s_cbranch_vccnz .LBB0_9
; %bb.7:                                ;   in Loop: Header=BB0_2 Depth=1
	v_mov_b32_e32 v11, v4
	v_mov_b32_e32 v10, v3
	s_branch .LBB0_2
.LBB0_8:
	v_mov_b32_e32 v1, v6
	v_mov_b32_e32 v3, v10
	;; [unrolled: 1-line block ×4, first 2 shown]
.LBB0_9:
	s_load_dwordx2 s[0:1], s[4:5], 0x28
	s_lshl_b64 s[6:7], s[14:15], 3
	s_add_u32 s4, s18, s6
	s_addc_u32 s5, s19, s7
                                        ; implicit-def: $vgpr5
                                        ; implicit-def: $vgpr8_vgpr9
	s_waitcnt lgkmcnt(0)
	v_cmp_gt_u64_e32 vcc, s[0:1], v[3:4]
	v_cmp_le_u64_e64 s[0:1], s[0:1], v[3:4]
	s_and_saveexec_b64 s[2:3], s[0:1]
	s_xor_b64 s[0:1], exec, s[2:3]
; %bb.10:
	s_mov_b32 s2, 0x2828283
	v_mul_hi_u32 v5, v0, s2
	v_mov_b32_e32 v6, 0
	v_mul_u32_u24_e32 v5, 0x66, v5
	v_sub_u32_e32 v5, v0, v5
	v_mov_b32_e32 v9, v6
	v_mov_b32_e32 v8, v5
                                        ; implicit-def: $vgpr0
                                        ; implicit-def: $vgpr6_vgpr7
; %bb.11:
	s_or_saveexec_b64 s[2:3], s[0:1]
	s_load_dwordx2 s[4:5], s[4:5], 0x0
	s_xor_b64 exec, exec, s[2:3]
	s_cbranch_execz .LBB0_15
; %bb.12:
	s_add_u32 s0, s16, s6
	s_addc_u32 s1, s17, s7
	s_load_dwordx2 s[0:1], s[0:1], 0x0
	s_mov_b32 s6, 0x2828283
	v_mul_hi_u32 v5, v0, s6
	v_lshlrev_b64 v[6:7], 2, v[6:7]
	s_waitcnt lgkmcnt(0)
	v_mul_lo_u32 v10, s1, v3
	v_mul_lo_u32 v11, s0, v4
	v_mad_u64_u32 v[8:9], s[0:1], s0, v3, 0
	v_mul_u32_u24_e32 v5, 0x66, v5
	v_sub_u32_e32 v5, v0, v5
	v_add3_u32 v9, v9, v11, v10
	v_lshlrev_b64 v[8:9], 2, v[8:9]
	v_mov_b32_e32 v0, s9
	v_add_co_u32_e64 v8, s[0:1], s8, v8
	v_addc_co_u32_e64 v0, s[0:1], v0, v9, s[0:1]
	v_add_co_u32_e64 v10, s[0:1], v8, v6
	v_addc_co_u32_e64 v11, s[0:1], v0, v7, s[0:1]
	v_lshlrev_b32_e32 v0, 2, v5
	v_add_co_u32_e64 v6, s[0:1], v10, v0
	v_addc_co_u32_e64 v7, s[0:1], 0, v11, s[0:1]
	global_load_dword v8, v[6:7], off
	global_load_dword v9, v[6:7], off offset:408
	global_load_dword v12, v[6:7], off offset:816
	;; [unrolled: 1-line block ×8, first 2 shown]
	v_mov_b32_e32 v6, 0
	v_add_u32_e32 v0, 0, v0
	s_movk_i32 s0, 0x65
	v_add_u32_e32 v7, 0x200, v0
	v_add_u32_e32 v19, 0x400, v0
	;; [unrolled: 1-line block ×3, first 2 shown]
	v_cmp_eq_u32_e64 s[0:1], s0, v5
	s_waitcnt vmcnt(7)
	ds_write2_b32 v0, v8, v9 offset1:102
	s_waitcnt vmcnt(5)
	ds_write2_b32 v7, v12, v13 offset0:76 offset1:178
	s_waitcnt vmcnt(3)
	ds_write2_b32 v19, v14, v15 offset0:152 offset1:254
	;; [unrolled: 2-line block ×3, first 2 shown]
	s_waitcnt vmcnt(0)
	ds_write_b32 v0, v18 offset:3264
	v_mov_b32_e32 v9, v6
	v_mov_b32_e32 v8, v5
	s_and_saveexec_b64 s[6:7], s[0:1]
	s_cbranch_execz .LBB0_14
; %bb.13:
	global_load_dword v0, v[10:11], off offset:3672
	v_mov_b32_e32 v8, 0x65
	v_mov_b32_e32 v9, 0
	;; [unrolled: 1-line block ×3, first 2 shown]
	s_waitcnt vmcnt(0)
	ds_write_b32 v6, v0 offset:3672
.LBB0_14:
	s_or_b64 exec, exec, s[6:7]
.LBB0_15:
	s_or_b64 exec, exec, s[2:3]
	v_lshlrev_b32_e32 v6, 2, v5
	v_add_u32_e32 v0, 0, v6
	s_waitcnt lgkmcnt(0)
	s_barrier
	v_sub_u32_e32 v13, 0, v6
	ds_read_u16 v6, v0
	ds_read_u16 v10, v13 offset:3672
	v_lshlrev_b64 v[7:8], 2, v[8:9]
	v_cmp_ne_u32_e64 s[0:1], 0, v5
	s_waitcnt lgkmcnt(0)
	v_add_f16_e32 v14, v10, v6
	v_sub_f16_e32 v15, v6, v10
	s_and_saveexec_b64 s[2:3], s[0:1]
	s_xor_b64 s[2:3], exec, s[2:3]
	s_cbranch_execz .LBB0_17
; %bb.16:
	v_mov_b32_e32 v9, s13
	v_add_co_u32_e64 v11, s[0:1], s12, v7
	v_addc_co_u32_e64 v12, s[0:1], v9, v8, s[0:1]
	global_load_dword v9, v[11:12], off offset:3604
	ds_read_u16 v11, v13 offset:3674
	ds_read_u16 v12, v0 offset:2
	v_add_f16_e32 v14, v10, v6
	v_sub_f16_e32 v6, v6, v10
	s_waitcnt lgkmcnt(0)
	v_add_f16_e32 v10, v11, v12
	v_sub_f16_e32 v11, v12, v11
	s_waitcnt vmcnt(0)
	v_lshrrev_b32_e32 v12, 16, v9
	v_fma_f16 v15, v6, v12, v14
	v_fma_f16 v16, v10, v12, v11
	v_fma_f16 v17, -v6, v12, v14
	v_fma_f16 v11, v10, v12, -v11
	v_fma_f16 v14, -v9, v10, v15
	v_fma_f16 v15, v6, v9, v16
	v_fma_f16 v10, v9, v10, v17
	;; [unrolled: 1-line block ×3, first 2 shown]
	v_pack_b32_f16 v6, v10, v6
	ds_write_b32 v13, v6 offset:3672
.LBB0_17:
	s_andn2_saveexec_b64 s[0:1], s[2:3]
	s_cbranch_execz .LBB0_19
; %bb.18:
	v_mov_b32_e32 v6, 0
	ds_read_b32 v9, v6 offset:1836
	s_mov_b32 s2, 0xc0004000
	s_waitcnt lgkmcnt(0)
	v_pk_mul_f16 v9, v9, s2
	ds_write_b32 v6, v9 offset:1836
.LBB0_19:
	s_or_b64 exec, exec, s[0:1]
	v_mov_b32_e32 v6, 0
	s_add_u32 s0, s12, 0xe14
	v_lshlrev_b64 v[9:10], 2, v[5:6]
	s_addc_u32 s1, s13, 0
	v_mov_b32_e32 v6, s1
	v_add_co_u32_e64 v11, s[0:1], s0, v9
	v_addc_co_u32_e64 v12, s[0:1], v6, v10, s[0:1]
	global_load_dword v6, v[11:12], off offset:408
	global_load_dword v16, v[11:12], off offset:816
	;; [unrolled: 1-line block ×3, first 2 shown]
	s_mov_b32 s0, 0x5040100
	v_perm_b32 v14, v15, v14, s0
	ds_write_b32 v0, v14
	ds_read_b32 v14, v0 offset:408
	ds_read_b32 v15, v13 offset:3264
	v_cmp_gt_u32_e64 s[0:1], 51, v5
	s_waitcnt lgkmcnt(0)
	v_add_f16_e32 v18, v14, v15
	v_add_f16_sdwa v19, v15, v14 dst_sel:DWORD dst_unused:UNUSED_PAD src0_sel:WORD_1 src1_sel:WORD_1
	v_sub_f16_e32 v20, v14, v15
	v_sub_f16_sdwa v14, v14, v15 dst_sel:DWORD dst_unused:UNUSED_PAD src0_sel:WORD_1 src1_sel:WORD_1
	s_waitcnt vmcnt(2)
	v_lshrrev_b32_e32 v15, 16, v6
	v_fma_f16 v21, v20, v15, v18
	v_fma_f16 v22, v19, v15, v14
	v_fma_f16 v18, -v20, v15, v18
	v_fma_f16 v14, v19, v15, -v14
	v_fma_f16 v15, -v6, v19, v21
	v_fma_f16 v21, v20, v6, v22
	v_fma_f16 v18, v6, v19, v18
	v_fma_f16 v6, v20, v6, v14
	v_pack_b32_f16 v14, v15, v21
	v_pack_b32_f16 v6, v18, v6
	ds_write_b32 v0, v14 offset:408
	ds_write_b32 v13, v6 offset:3264
	ds_read_b32 v6, v0 offset:816
	ds_read_b32 v14, v13 offset:2856
	s_waitcnt vmcnt(1)
	v_lshrrev_b32_e32 v15, 16, v16
	s_waitcnt lgkmcnt(0)
	v_add_f16_e32 v18, v6, v14
	v_add_f16_sdwa v19, v14, v6 dst_sel:DWORD dst_unused:UNUSED_PAD src0_sel:WORD_1 src1_sel:WORD_1
	v_sub_f16_e32 v20, v6, v14
	v_sub_f16_sdwa v6, v6, v14 dst_sel:DWORD dst_unused:UNUSED_PAD src0_sel:WORD_1 src1_sel:WORD_1
	v_fma_f16 v14, v20, v15, v18
	v_fma_f16 v21, v19, v15, v6
	v_fma_f16 v18, -v20, v15, v18
	v_fma_f16 v6, v19, v15, -v6
	v_fma_f16 v14, -v16, v19, v14
	v_fma_f16 v15, v20, v16, v21
	v_fma_f16 v18, v16, v19, v18
	;; [unrolled: 1-line block ×3, first 2 shown]
	v_pack_b32_f16 v14, v14, v15
	v_pack_b32_f16 v6, v18, v6
	ds_write_b32 v0, v14 offset:816
	ds_write_b32 v13, v6 offset:2856
	ds_read_b32 v6, v0 offset:1224
	ds_read_b32 v14, v13 offset:2448
	s_waitcnt vmcnt(0)
	v_lshrrev_b32_e32 v15, 16, v17
	s_waitcnt lgkmcnt(0)
	v_add_f16_e32 v16, v6, v14
	v_add_f16_sdwa v18, v14, v6 dst_sel:DWORD dst_unused:UNUSED_PAD src0_sel:WORD_1 src1_sel:WORD_1
	v_sub_f16_e32 v19, v6, v14
	v_sub_f16_sdwa v6, v6, v14 dst_sel:DWORD dst_unused:UNUSED_PAD src0_sel:WORD_1 src1_sel:WORD_1
	v_fma_f16 v14, v19, v15, v16
	v_fma_f16 v20, v18, v15, v6
	v_fma_f16 v16, -v19, v15, v16
	v_fma_f16 v6, v18, v15, -v6
	v_fma_f16 v14, -v17, v18, v14
	v_fma_f16 v15, v19, v17, v20
	v_fma_f16 v16, v17, v18, v16
	v_fma_f16 v6, v19, v17, v6
	v_pack_b32_f16 v14, v14, v15
	v_pack_b32_f16 v6, v16, v6
	ds_write_b32 v0, v14 offset:1224
	ds_write_b32 v13, v6 offset:2448
	s_and_saveexec_b64 s[2:3], s[0:1]
	s_cbranch_execz .LBB0_21
; %bb.20:
	global_load_dword v6, v[11:12], off offset:1632
	ds_read_b32 v11, v0 offset:1632
	ds_read_b32 v12, v13 offset:2040
	s_waitcnt lgkmcnt(0)
	v_add_f16_e32 v14, v11, v12
	v_add_f16_sdwa v15, v12, v11 dst_sel:DWORD dst_unused:UNUSED_PAD src0_sel:WORD_1 src1_sel:WORD_1
	v_sub_f16_e32 v16, v11, v12
	v_sub_f16_sdwa v11, v11, v12 dst_sel:DWORD dst_unused:UNUSED_PAD src0_sel:WORD_1 src1_sel:WORD_1
	s_waitcnt vmcnt(0)
	v_lshrrev_b32_e32 v12, 16, v6
	v_fma_f16 v17, v16, v12, v14
	v_fma_f16 v18, v15, v12, v11
	v_fma_f16 v14, -v16, v12, v14
	v_fma_f16 v11, v15, v12, -v11
	v_fma_f16 v12, -v6, v15, v17
	v_fma_f16 v17, v16, v6, v18
	v_fma_f16 v14, v6, v15, v14
	;; [unrolled: 1-line block ×3, first 2 shown]
	v_pack_b32_f16 v11, v12, v17
	v_pack_b32_f16 v6, v14, v6
	ds_write_b32 v0, v11 offset:1632
	ds_write_b32 v13, v6 offset:2040
.LBB0_21:
	s_or_b64 exec, exec, s[2:3]
	s_waitcnt lgkmcnt(0)
	s_barrier
	s_barrier
	ds_read2_b32 v[11:12], v0 offset1:54
	v_add_u32_e32 v6, 0x800, v0
	v_add_u32_e32 v15, 0xa00, v0
	ds_read2_b32 v[13:14], v6 offset0:136 offset1:190
	ds_read_b32 v31, v0 offset:3456
	ds_read2_b32 v[15:16], v15 offset0:116 offset1:170
	ds_read2_b32 v[25:26], v0 offset0:108 offset1:162
	v_add_u32_e32 v29, 0x200, v0
	ds_read2_b32 v[23:24], v29 offset0:88 offset1:142
	s_waitcnt lgkmcnt(3)
	v_pk_add_f16 v40, v12, v31 neg_lo:[0,1] neg_hi:[0,1]
	s_mov_b32 s20, 0xb1e1
	v_pk_add_f16 v33, v31, v12
	s_waitcnt lgkmcnt(1)
	v_pk_add_f16 v41, v25, v16 neg_lo:[0,1] neg_hi:[0,1]
	v_pk_mul_f16 v17, v40, s20 op_sel_hi:[1,0]
	s_mov_b32 s8, 0xbbdd
	s_movk_i32 s25, 0x35c8
	v_pk_add_f16 v34, v16, v25
	v_pk_add_f16 v42, v26, v15 neg_lo:[0,1] neg_hi:[0,1]
	v_pk_fma_f16 v43, v33, s8, v17 op_sel:[0,0,1] op_sel_hi:[1,0,0]
	v_pk_fma_f16 v44, v33, s8, v17 op_sel:[0,0,1] op_sel_hi:[1,0,0] neg_lo:[0,0,1] neg_hi:[0,0,1]
	v_pk_mul_f16 v17, v41, s25 op_sel_hi:[1,0]
	s_movk_i32 s15, 0x3b76
	s_mov_b32 s21, 0xb836
	v_pk_add_f16 v32, v15, v26
	v_pk_fma_f16 v45, v34, s15, v17 op_sel:[0,0,1] op_sel_hi:[1,0,0]
	v_pk_fma_f16 v46, v34, s15, v17 op_sel:[0,0,1] op_sel_hi:[1,0,0] neg_lo:[0,0,1] neg_hi:[0,0,1]
	v_pk_mul_f16 v17, v42, s21 op_sel_hi:[1,0]
	s_mov_b32 s9, 0xbacd
	s_movk_i32 s24, 0x3964
	s_waitcnt lgkmcnt(0)
	v_pk_add_f16 v52, v23, v14 neg_lo:[0,1] neg_hi:[0,1]
	v_pk_fma_f16 v47, v32, s9, v17 op_sel:[0,0,1] op_sel_hi:[1,0,0]
	v_pk_fma_f16 v48, v32, s9, v17 op_sel:[0,0,1] op_sel_hi:[1,0,0] neg_lo:[0,0,1] neg_hi:[0,0,1]
	s_movk_i32 s16, 0x39e9
	v_pk_add_f16 v36, v14, v23
	v_pk_mul_f16 v17, v52, s24 op_sel_hi:[1,0]
	v_add_u32_e32 v30, 0x400, v0
	v_pk_fma_f16 v49, v36, s16, v17 op_sel:[0,0,1] op_sel_hi:[1,0,0]
	v_pk_fma_f16 v50, v36, s16, v17 op_sel:[0,0,1] op_sel_hi:[1,0,0] neg_lo:[0,0,1] neg_hi:[0,0,1]
	ds_read2_b32 v[19:20], v30 offset0:68 offset1:122
	ds_read2_b32 v[17:18], v6 offset0:28 offset1:82
	s_mov_b32 s22, 0xba62
	v_pk_add_f16 v53, v24, v13 neg_lo:[0,1] neg_hi:[0,1]
	s_mov_b32 s14, 0xb8d2
	v_pk_add_f16 v37, v13, v24
	v_pk_mul_f16 v21, v53, s22 op_sel_hi:[1,0]
	s_movk_i32 s29, 0x3b29
	s_waitcnt lgkmcnt(0)
	v_pk_add_f16 v55, v19, v18 neg_lo:[0,1] neg_hi:[0,1]
	v_pk_fma_f16 v54, v37, s14, v21 op_sel:[0,0,1] op_sel_hi:[1,0,0]
	v_pk_fma_f16 v57, v37, s14, v21 op_sel:[0,0,1] op_sel_hi:[1,0,0] neg_lo:[0,0,1] neg_hi:[0,0,1]
	s_movk_i32 s18, 0x3722
	v_pk_add_f16 v39, v18, v19
	v_pk_mul_f16 v21, v55, s29 op_sel_hi:[1,0]
	s_mov_b32 s23, 0xbbb2
	v_pk_add_f16 v56, v20, v17 neg_lo:[0,1] neg_hi:[0,1]
	v_pk_fma_f16 v58, v39, s18, v21 op_sel:[0,0,1] op_sel_hi:[1,0,0]
	v_pk_fma_f16 v59, v39, s18, v21 op_sel:[0,0,1] op_sel_hi:[1,0,0] neg_lo:[0,0,1] neg_hi:[0,0,1]
	s_mov_b32 s17, 0xb461
	v_pk_add_f16 v38, v17, v20
	v_pk_mul_f16 v21, v56, s23 op_sel_hi:[1,0]
	v_pk_fma_f16 v60, v38, s17, v21 op_sel:[0,0,1] op_sel_hi:[1,0,0]
	v_pk_fma_f16 v61, v38, s17, v21 op_sel:[0,0,1] op_sel_hi:[1,0,0] neg_lo:[0,0,1] neg_hi:[0,0,1]
	v_add_f16_e32 v21, v11, v43
	v_add_f16_e32 v21, v45, v21
	;; [unrolled: 1-line block ×3, first 2 shown]
	ds_read2_b32 v[21:22], v30 offset0:176 offset1:230
	s_movk_i32 s27, 0x3bf7
	s_movk_i32 s19, 0x2de8
	v_add_f16_e32 v27, v49, v27
	v_add_f16_e32 v27, v54, v27
	s_waitcnt lgkmcnt(0)
	v_pk_add_f16 v35, v21, v22 neg_lo:[0,1] neg_hi:[0,1]
	v_pk_add_f16 v51, v22, v21
	v_pk_mul_f16 v28, v35, s27 op_sel_hi:[1,0]
	v_pk_fma_f16 v62, v51, s19, v28 op_sel:[0,0,1] op_sel_hi:[1,0,0]
	v_pk_fma_f16 v63, v51, s19, v28 op_sel:[0,0,1] op_sel_hi:[1,0,0] neg_lo:[0,0,1] neg_hi:[0,0,1]
	v_add_f16_sdwa v28, v11, v44 dst_sel:DWORD dst_unused:UNUSED_PAD src0_sel:WORD_1 src1_sel:WORD_1
	v_add_f16_sdwa v28, v46, v28 dst_sel:DWORD dst_unused:UNUSED_PAD src0_sel:WORD_1 src1_sel:DWORD
	v_add_f16_sdwa v28, v48, v28 dst_sel:DWORD dst_unused:UNUSED_PAD src0_sel:WORD_1 src1_sel:DWORD
	;; [unrolled: 1-line block ×4, first 2 shown]
	v_add_f16_e32 v27, v58, v27
	v_add_f16_sdwa v28, v59, v28 dst_sel:DWORD dst_unused:UNUSED_PAD src0_sel:WORD_1 src1_sel:DWORD
	v_add_f16_e32 v27, v60, v27
	v_add_f16_sdwa v28, v61, v28 dst_sel:DWORD dst_unused:UNUSED_PAD src0_sel:WORD_1 src1_sel:DWORD
	;; [unrolled: 2-line block ×3, first 2 shown]
	v_cmp_gt_u32_e64 s[2:3], 54, v5
	s_barrier
	s_and_saveexec_b64 s[6:7], s[2:3]
	s_cbranch_execz .LBB0_23
; %bb.22:
	s_mov_b32 s2, 0xffff
	v_bfi_b32 v43, s2, v44, v43
	v_bfi_b32 v44, s2, v46, v45
	;; [unrolled: 1-line block ×4, first 2 shown]
	v_mul_f16_e32 v66, 0xb836, v40
	v_lshrrev_b32_e32 v58, 16, v33
	v_bfi_b32 v47, s2, v57, v54
	v_fma_f16 v54, v58, s9, v66
	v_mul_f16_e32 v67, 0x3b29, v41
	v_lshrrev_b32_e32 v59, 16, v34
	v_bfi_b32 v46, s2, v50, v49
	v_bfi_b32 v49, s2, v61, v60
	v_add_f16_sdwa v54, v11, v54 dst_sel:DWORD dst_unused:UNUSED_PAD src0_sel:WORD_1 src1_sel:DWORD
	v_fma_f16 v57, v59, s18, v67
	v_mul_f16_e32 v68, 0xbbf7, v42
	v_lshrrev_b32_e32 v60, 16, v32
	v_add_f16_e32 v54, v57, v54
	v_fma_f16 v57, v60, s19, v68
	v_mul_f16_e32 v69, 0x3a62, v52
	v_lshrrev_b32_e32 v61, 16, v36
	v_bfi_b32 v50, s2, v63, v62
	v_add_f16_e32 v54, v57, v54
	v_fma_f16 v57, v61, s14, v69
	v_mul_f16_e32 v70, 0xb5c8, v53
	v_lshrrev_b32_e32 v63, 16, v37
	v_add_f16_e32 v54, v57, v54
	v_fma_f16 v57, v63, s15, v70
	v_mul_f16_e32 v71, 0xb1e1, v55
	v_lshrrev_b32_e32 v64, 16, v39
	;; [unrolled: 4-line block ×4, first 2 shown]
	v_add_f16_e32 v54, v57, v54
	v_fma_f16 v57, v62, s17, v73
	v_mul_f16_sdwa v74, v40, s21 dst_sel:DWORD dst_unused:UNUSED_PAD src0_sel:WORD_1 src1_sel:DWORD
	v_add_f16_e32 v54, v57, v54
	v_fma_f16 v57, v33, s9, -v74
	v_mul_f16_sdwa v75, v41, s29 dst_sel:DWORD dst_unused:UNUSED_PAD src0_sel:WORD_1 src1_sel:DWORD
	s_mov_b32 s3, 0xbbf7
	v_add_f16_e32 v57, v11, v57
	v_fma_f16 v76, v34, s18, -v75
	v_add_f16_e32 v57, v76, v57
	v_mul_f16_sdwa v76, v42, s3 dst_sel:DWORD dst_unused:UNUSED_PAD src0_sel:WORD_1 src1_sel:DWORD
	s_movk_i32 s28, 0x3a62
	v_fma_f16 v77, v32, s19, -v76
	v_add_f16_e32 v57, v77, v57
	v_mul_f16_sdwa v77, v52, s28 dst_sel:DWORD dst_unused:UNUSED_PAD src0_sel:WORD_1 src1_sel:DWORD
	s_mov_b32 s26, 0xb5c8
	v_fma_f16 v78, v36, s14, -v77
	v_add_f16_e32 v57, v78, v57
	v_mul_f16_sdwa v78, v53, s26 dst_sel:DWORD dst_unused:UNUSED_PAD src0_sel:WORD_1 src1_sel:DWORD
	v_fma_f16 v79, v37, s15, -v78
	v_add_f16_e32 v57, v79, v57
	v_mul_f16_sdwa v79, v55, s20 dst_sel:DWORD dst_unused:UNUSED_PAD src0_sel:WORD_1 src1_sel:DWORD
	;; [unrolled: 3-line block ×4, first 2 shown]
	v_fma_f16 v82, v51, s17, -v81
	v_add_f16_e32 v57, v82, v57
	v_mul_f16_e32 v82, 0xba62, v40
	v_fma_f16 v83, v58, s14, v82
	v_add_f16_sdwa v84, v11, v83 dst_sel:DWORD dst_unused:UNUSED_PAD src0_sel:WORD_1 src1_sel:DWORD
	v_mul_f16_e32 v83, 0x3bb2, v41
	v_fma_f16 v85, v59, s17, v83
	v_add_f16_e32 v85, v85, v84
	v_mul_f16_e32 v84, 0xb5c8, v42
	v_fma_f16 v86, v60, s15, v84
	v_add_f16_e32 v86, v86, v85
	;; [unrolled: 3-line block ×3, first 2 shown]
	v_mul_f16_e32 v86, 0x3bf7, v53
	v_fma_f16 v88, v63, s19, v86
	v_pk_add_f16 v12, v11, v12
	v_add_f16_e32 v88, v88, v87
	v_mul_f16_e32 v87, 0xb964, v55
	v_pk_add_f16 v12, v12, v25
	v_fma_f16 v89, v64, s16, v87
	v_pk_add_f16 v25, v12, v26
	v_mul_f16_e32 v26, 0xb1e1, v56
	v_add_f16_e32 v88, v89, v88
	v_fma_f16 v12, v65, s8, v26
	v_add_f16_e32 v12, v12, v88
	v_mul_f16_e32 v88, 0x3b29, v35
	v_pk_add_f16 v23, v25, v23
	v_fma_f16 v89, v62, s18, v88
	s_movk_i32 s30, 0x3bb2
	v_pk_add_f16 v23, v23, v24
	v_mul_f16_sdwa v24, v40, s22 dst_sel:DWORD dst_unused:UNUSED_PAD src0_sel:WORD_1 src1_sel:DWORD
	v_add_f16_e32 v12, v89, v12
	v_fma_f16 v25, v33, s14, -v24
	v_mul_f16_sdwa v89, v41, s30 dst_sel:DWORD dst_unused:UNUSED_PAD src0_sel:WORD_1 src1_sel:DWORD
	v_add_f16_e32 v25, v11, v25
	v_fma_f16 v90, v34, s17, -v89
	v_add_f16_e32 v25, v90, v25
	v_mul_f16_sdwa v90, v42, s26 dst_sel:DWORD dst_unused:UNUSED_PAD src0_sel:WORD_1 src1_sel:DWORD
	v_fma_f16 v91, v32, s15, -v90
	v_add_f16_e32 v25, v91, v25
	v_mul_f16_sdwa v91, v52, s21 dst_sel:DWORD dst_unused:UNUSED_PAD src0_sel:WORD_1 src1_sel:DWORD
	;; [unrolled: 3-line block ×3, first 2 shown]
	v_fma_f16 v93, v37, s19, -v92
	s_mov_b32 s31, 0xb964
	v_add_f16_e32 v25, v93, v25
	v_mul_f16_sdwa v93, v55, s31 dst_sel:DWORD dst_unused:UNUSED_PAD src0_sel:WORD_1 src1_sel:DWORD
	v_fma_f16 v94, v39, s16, -v93
	v_add_f16_e32 v25, v94, v25
	v_mul_f16_sdwa v94, v56, s20 dst_sel:DWORD dst_unused:UNUSED_PAD src0_sel:WORD_1 src1_sel:DWORD
	v_fma_f16 v95, v38, s8, -v94
	;; [unrolled: 3-line block ×3, first 2 shown]
	v_add_f16_e32 v25, v96, v25
	v_mul_f16_e32 v96, 0xbbb2, v40
	v_fma_f16 v97, v58, s17, v96
	v_mul_f16_e32 v98, 0x3836, v41
	v_add_f16_sdwa v97, v11, v97 dst_sel:DWORD dst_unused:UNUSED_PAD src0_sel:WORD_1 src1_sel:DWORD
	v_fma_f16 v99, v59, s9, v98
	v_add_f16_e32 v97, v99, v97
	v_mul_f16_e32 v99, 0x3964, v42
	v_fma_f16 v100, v60, s16, v99
	v_add_f16_e32 v97, v100, v97
	v_mul_f16_e32 v100, 0xbb29, v52
	;; [unrolled: 3-line block ×6, first 2 shown]
	v_fma_f16 v105, v62, s14, v104
	v_add_f16_e32 v97, v105, v97
	s_movk_i32 s29, 0x3836
	v_mul_f16_sdwa v105, v40, s23 dst_sel:DWORD dst_unused:UNUSED_PAD src0_sel:WORD_1 src1_sel:DWORD
	v_fma_f16 v106, v33, s17, -v105
	v_mul_f16_sdwa v107, v41, s29 dst_sel:DWORD dst_unused:UNUSED_PAD src0_sel:WORD_1 src1_sel:DWORD
	v_add_f16_e32 v106, v11, v106
	v_fma_f16 v108, v34, s9, -v107
	v_add_f16_e32 v106, v108, v106
	v_mul_f16_sdwa v108, v42, s24 dst_sel:DWORD dst_unused:UNUSED_PAD src0_sel:WORD_1 src1_sel:DWORD
	v_fma_f16 v109, v32, s16, -v108
	s_mov_b32 s29, 0xbb29
	v_add_f16_e32 v106, v109, v106
	v_mul_f16_sdwa v109, v52, s29 dst_sel:DWORD dst_unused:UNUSED_PAD src0_sel:WORD_1 src1_sel:DWORD
	v_fma_f16 v110, v36, s18, -v109
	v_add_f16_e32 v106, v110, v106
	v_mul_f16_sdwa v110, v53, s20 dst_sel:DWORD dst_unused:UNUSED_PAD src0_sel:WORD_1 src1_sel:DWORD
	v_fma_f16 v111, v37, s8, -v110
	;; [unrolled: 3-line block ×5, first 2 shown]
	v_add_f16_e32 v106, v114, v106
	v_mul_f16_e32 v114, 0xbbf7, v40
	v_fma_f16 v115, v58, s19, v114
	v_mul_f16_e32 v116, 0xb1e1, v41
	v_add_f16_sdwa v115, v11, v115 dst_sel:DWORD dst_unused:UNUSED_PAD src0_sel:WORD_1 src1_sel:DWORD
	v_fma_f16 v117, v59, s8, v116
	v_add_f16_e32 v115, v117, v115
	v_mul_f16_e32 v117, 0x3bb2, v42
	v_fma_f16 v118, v60, s17, v117
	v_add_f16_e32 v115, v118, v115
	v_mul_f16_e32 v118, 0x35c8, v52
	;; [unrolled: 3-line block ×6, first 2 shown]
	v_fma_f16 v123, v62, s16, v122
	v_add_f16_e32 v115, v123, v115
	v_mul_f16_sdwa v123, v40, s3 dst_sel:DWORD dst_unused:UNUSED_PAD src0_sel:WORD_1 src1_sel:DWORD
	v_fma_f16 v124, v33, s19, -v123
	v_mul_f16_sdwa v125, v41, s20 dst_sel:DWORD dst_unused:UNUSED_PAD src0_sel:WORD_1 src1_sel:DWORD
	v_add_f16_e32 v124, v11, v124
	v_fma_f16 v126, v34, s8, -v125
	v_fma_f16 v66, v58, s9, -v66
	v_add_f16_e32 v124, v126, v124
	v_mul_f16_sdwa v126, v42, s30 dst_sel:DWORD dst_unused:UNUSED_PAD src0_sel:WORD_1 src1_sel:DWORD
	v_add_f16_sdwa v66, v11, v66 dst_sel:DWORD dst_unused:UNUSED_PAD src0_sel:WORD_1 src1_sel:DWORD
	v_fma_f16 v67, v59, s18, -v67
	v_fma_f16 v127, v32, s17, -v126
	v_add_f16_e32 v66, v67, v66
	v_fma_f16 v67, v60, s19, -v68
	v_add_f16_e32 v124, v127, v124
	v_mul_f16_sdwa v127, v52, s25 dst_sel:DWORD dst_unused:UNUSED_PAD src0_sel:WORD_1 src1_sel:DWORD
	v_add_f16_e32 v66, v67, v66
	v_fma_f16 v67, v61, s14, -v69
	v_fma_f16 v128, v36, s15, -v127
	v_add_f16_e32 v66, v67, v66
	v_fma_f16 v67, v63, s15, -v70
	v_add_f16_e32 v124, v128, v124
	v_mul_f16_sdwa v128, v53, s29 dst_sel:DWORD dst_unused:UNUSED_PAD src0_sel:WORD_1 src1_sel:DWORD
	v_add_f16_e32 v66, v67, v66
	;; [unrolled: 7-line block ×3, first 2 shown]
	v_fma_f16 v67, v62, s17, -v73
	v_fma_f16 v130, v39, s9, -v129
	v_add_f16_e32 v66, v67, v66
	v_fma_f16 v67, v33, s9, v74
	v_add_f16_e32 v124, v130, v124
	v_mul_f16_sdwa v130, v56, s28 dst_sel:DWORD dst_unused:UNUSED_PAD src0_sel:WORD_1 src1_sel:DWORD
	v_add_f16_e32 v67, v11, v67
	v_fma_f16 v68, v34, s18, v75
	v_fma_f16 v131, v38, s14, -v130
	v_add_f16_e32 v67, v68, v67
	v_fma_f16 v68, v32, s19, v76
	v_add_f16_e32 v124, v131, v124
	v_mul_f16_sdwa v131, v35, s24 dst_sel:DWORD dst_unused:UNUSED_PAD src0_sel:WORD_1 src1_sel:DWORD
	v_add_f16_e32 v67, v68, v67
	v_fma_f16 v68, v36, s14, v77
	v_fma_f16 v132, v51, s16, -v131
	v_add_f16_e32 v67, v68, v67
	v_fma_f16 v68, v37, s15, v78
	v_add_f16_e32 v124, v132, v124
	v_mul_f16_e32 v132, 0xbb29, v40
	v_add_f16_e32 v67, v68, v67
	v_fma_f16 v68, v39, s8, v79
	v_fma_f16 v133, v58, s18, v132
	v_mul_f16_e32 v134, 0xba62, v41
	v_add_f16_e32 v67, v68, v67
	v_fma_f16 v68, v38, s16, v80
	v_add_f16_sdwa v133, v11, v133 dst_sel:DWORD dst_unused:UNUSED_PAD src0_sel:WORD_1 src1_sel:DWORD
	v_fma_f16 v135, v59, s14, v134
	v_add_f16_e32 v67, v68, v67
	v_fma_f16 v68, v51, s17, v81
	v_add_f16_e32 v133, v135, v133
	v_mul_f16_e32 v135, 0x31e1, v42
	v_add_f16_e32 v67, v68, v67
	v_fma_f16 v68, v58, s14, -v82
	v_fma_f16 v136, v60, s8, v135
	v_add_f16_sdwa v68, v11, v68 dst_sel:DWORD dst_unused:UNUSED_PAD src0_sel:WORD_1 src1_sel:DWORD
	v_fma_f16 v69, v59, s17, -v83
	v_add_f16_e32 v133, v136, v133
	v_mul_f16_e32 v136, 0x3bb2, v52
	v_add_f16_e32 v68, v69, v68
	v_fma_f16 v69, v60, s15, -v84
	v_fma_f16 v137, v61, s17, v136
	v_add_f16_e32 v68, v69, v68
	v_fma_f16 v69, v61, s9, -v85
	v_add_f16_e32 v133, v137, v133
	v_mul_f16_e32 v137, 0x3964, v53
	v_add_f16_e32 v68, v69, v68
	v_fma_f16 v69, v63, s19, -v86
	v_fma_f16 v138, v63, s16, v137
	v_add_f16_e32 v68, v69, v68
	;; [unrolled: 7-line block ×3, first 2 shown]
	v_fma_f16 v68, v62, s18, -v88
	v_fma_f16 v24, v33, s14, v24
	v_add_f16_e32 v133, v139, v133
	v_mul_f16_e32 v139, 0xbbf7, v56
	v_add_f16_e32 v26, v68, v26
	v_add_f16_e32 v24, v11, v24
	v_fma_f16 v68, v34, s17, v89
	v_fma_f16 v140, v65, s19, v139
	v_add_f16_e32 v24, v68, v24
	v_fma_f16 v68, v32, s15, v90
	v_add_f16_e32 v133, v140, v133
	v_mul_f16_e32 v140, 0xbacd, v62
	v_add_f16_e32 v24, v68, v24
	v_fma_f16 v68, v36, s9, v91
	v_fma_f16 v141, v35, s21, v140
	v_add_f16_e32 v24, v68, v24
	v_fma_f16 v68, v37, s19, v92
	v_add_f16_e32 v133, v141, v133
	v_mul_f16_sdwa v141, v40, s29 dst_sel:DWORD dst_unused:UNUSED_PAD src0_sel:WORD_1 src1_sel:DWORD
	v_add_f16_e32 v24, v68, v24
	v_fma_f16 v68, v39, s16, v93
	v_fma_f16 v142, v33, s18, -v141
	v_mul_f16_sdwa v143, v41, s22 dst_sel:DWORD dst_unused:UNUSED_PAD src0_sel:WORD_1 src1_sel:DWORD
	v_add_f16_e32 v24, v68, v24
	v_fma_f16 v68, v38, s8, v94
	v_add_f16_e32 v142, v11, v142
	v_fma_f16 v144, v34, s14, -v143
	s_movk_i32 s25, 0x31e1
	v_add_f16_e32 v24, v68, v24
	v_fma_f16 v68, v51, s18, v95
	v_add_f16_e32 v142, v144, v142
	v_mul_f16_sdwa v144, v42, s25 dst_sel:DWORD dst_unused:UNUSED_PAD src0_sel:WORD_1 src1_sel:DWORD
	v_add_f16_e32 v24, v68, v24
	v_fma_f16 v68, v58, s17, -v96
	v_fma_f16 v145, v32, s8, -v144
	v_add_f16_sdwa v68, v11, v68 dst_sel:DWORD dst_unused:UNUSED_PAD src0_sel:WORD_1 src1_sel:DWORD
	v_fma_f16 v69, v59, s9, -v98
	v_add_f16_e32 v142, v145, v142
	v_mul_f16_sdwa v145, v52, s30 dst_sel:DWORD dst_unused:UNUSED_PAD src0_sel:WORD_1 src1_sel:DWORD
	v_add_f16_e32 v68, v69, v68
	v_fma_f16 v69, v60, s16, -v99
	v_fma_f16 v146, v36, s17, -v145
	v_add_f16_e32 v68, v69, v68
	v_fma_f16 v69, v61, s18, -v100
	v_add_f16_e32 v142, v146, v142
	v_mul_f16_sdwa v146, v53, s24 dst_sel:DWORD dst_unused:UNUSED_PAD src0_sel:WORD_1 src1_sel:DWORD
	v_add_f16_e32 v68, v69, v68
	v_fma_f16 v69, v63, s8, -v101
	v_fma_f16 v147, v37, s16, -v146
	v_add_f16_e32 v68, v69, v68
	;; [unrolled: 7-line block ×3, first 2 shown]
	v_fma_f16 v69, v62, s14, -v104
	v_add_f16_e32 v142, v148, v142
	v_mul_f16_sdwa v148, v56, s3 dst_sel:DWORD dst_unused:UNUSED_PAD src0_sel:WORD_1 src1_sel:DWORD
	v_add_f16_e32 v68, v69, v68
	v_fma_f16 v69, v33, s17, v105
	v_fma_f16 v149, v38, s19, -v148
	v_add_f16_e32 v69, v11, v69
	v_fma_f16 v70, v34, s9, v107
	v_add_f16_e32 v142, v149, v142
	v_mul_f16_sdwa v149, v35, s21 dst_sel:DWORD dst_unused:UNUSED_PAD src0_sel:WORD_1 src1_sel:DWORD
	v_add_f16_e32 v69, v70, v69
	v_fma_f16 v70, v32, s16, v108
	v_fma_f16 v150, v51, s9, -v149
	v_add_f16_e32 v69, v70, v69
	v_fma_f16 v70, v36, s18, v109
	v_add_f16_e32 v142, v150, v142
	v_mul_f16_e32 v150, 0xb964, v40
	v_add_f16_e32 v69, v70, v69
	v_fma_f16 v70, v37, s8, v110
	v_fma_f16 v151, v58, s16, v150
	v_mul_f16_e32 v152, 0xbbf7, v41
	v_add_f16_e32 v69, v70, v69
	v_fma_f16 v70, v39, s19, v111
	v_add_f16_sdwa v151, v11, v151 dst_sel:DWORD dst_unused:UNUSED_PAD src0_sel:WORD_1 src1_sel:DWORD
	v_fma_f16 v153, v59, s19, v152
	v_add_f16_e32 v69, v70, v69
	v_fma_f16 v70, v38, s15, v112
	v_add_f16_e32 v151, v153, v151
	v_mul_f16_e32 v153, 0xba62, v42
	v_add_f16_e32 v69, v70, v69
	v_fma_f16 v70, v51, s14, v113
	v_fma_f16 v154, v60, s14, v153
	v_add_f16_e32 v69, v70, v69
	v_fma_f16 v70, v58, s19, -v114
	v_add_f16_e32 v151, v154, v151
	v_mul_f16_e32 v154, 0xb1e1, v52
	v_add_f16_sdwa v70, v11, v70 dst_sel:DWORD dst_unused:UNUSED_PAD src0_sel:WORD_1 src1_sel:DWORD
	v_fma_f16 v71, v59, s8, -v116
	v_fma_f16 v155, v61, s8, v154
	v_add_f16_e32 v70, v71, v70
	v_fma_f16 v71, v60, s17, -v117
	v_add_f16_e32 v151, v155, v151
	v_mul_f16_e32 v155, 0x3836, v53
	v_add_f16_e32 v70, v71, v70
	v_fma_f16 v71, v61, s15, -v118
	v_fma_f16 v156, v63, s9, v155
	v_add_f16_e32 v70, v71, v70
	v_fma_f16 v71, v63, s18, -v119
	v_add_f16_e32 v151, v156, v151
	v_mul_f16_e32 v156, 0x3bb2, v55
	v_add_f16_e32 v70, v71, v70
	;; [unrolled: 7-line block ×3, first 2 shown]
	v_fma_f16 v71, v62, s16, -v122
	v_fma_f16 v158, v65, s18, v157
	v_add_f16_e32 v70, v71, v70
	v_fma_f16 v71, v33, s19, v123
	v_add_f16_e32 v151, v158, v151
	v_mul_f16_e32 v158, 0x35c8, v35
	v_add_f16_e32 v71, v11, v71
	v_fma_f16 v72, v34, s8, v125
	v_fma_f16 v159, v62, s15, v158
	v_add_f16_e32 v71, v72, v71
	v_fma_f16 v72, v32, s17, v126
	v_add_f16_e32 v151, v159, v151
	v_mul_f16_sdwa v159, v40, s26 dst_sel:DWORD dst_unused:UNUSED_PAD src0_sel:WORD_1 src1_sel:DWORD
	v_add_f16_e32 v71, v72, v71
	v_fma_f16 v72, v36, s15, v127
	v_fma_f16 v160, v33, s15, -v159
	v_mul_f16_sdwa v161, v41, s31 dst_sel:DWORD dst_unused:UNUSED_PAD src0_sel:WORD_1 src1_sel:DWORD
	v_add_f16_e32 v71, v72, v71
	v_fma_f16 v72, v37, s18, v128
	v_add_f16_e32 v160, v11, v160
	v_fma_f16 v162, v34, s16, -v161
	v_add_f16_e32 v71, v72, v71
	v_fma_f16 v72, v39, s9, v129
	v_add_f16_e32 v160, v162, v160
	v_mul_f16_sdwa v162, v42, s29 dst_sel:DWORD dst_unused:UNUSED_PAD src0_sel:WORD_1 src1_sel:DWORD
	v_add_f16_e32 v71, v72, v71
	v_fma_f16 v72, v38, s14, v130
	v_fma_f16 v163, v32, s18, -v162
	v_add_f16_e32 v71, v72, v71
	v_fma_f16 v72, v51, s16, v131
	v_add_f16_e32 v160, v163, v160
	v_mul_f16_sdwa v163, v52, s3 dst_sel:DWORD dst_unused:UNUSED_PAD src0_sel:WORD_1 src1_sel:DWORD
	v_add_f16_e32 v71, v72, v71
	v_fma_f16 v72, v58, s18, -v132
	v_fma_f16 v164, v36, s19, -v163
	v_add_f16_sdwa v72, v11, v72 dst_sel:DWORD dst_unused:UNUSED_PAD src0_sel:WORD_1 src1_sel:DWORD
	v_fma_f16 v73, v59, s14, -v134
	v_fma_f16 v58, v58, s16, -v150
	v_add_f16_e32 v160, v164, v160
	v_mul_f16_sdwa v164, v53, s23 dst_sel:DWORD dst_unused:UNUSED_PAD src0_sel:WORD_1 src1_sel:DWORD
	v_add_f16_e32 v72, v73, v72
	v_fma_f16 v73, v60, s8, -v135
	v_fma_f16 v59, v59, s19, -v152
	v_add_f16_sdwa v58, v11, v58 dst_sel:DWORD dst_unused:UNUSED_PAD src0_sel:WORD_1 src1_sel:DWORD
	v_fma_f16 v165, v37, s17, -v164
	v_add_f16_e32 v72, v73, v72
	v_fma_f16 v73, v61, s17, -v136
	v_add_f16_e32 v58, v59, v58
	v_fma_f16 v59, v60, s14, -v153
	v_pk_add_f16 v19, v23, v19
	v_add_f16_e32 v160, v165, v160
	v_mul_f16_sdwa v165, v55, s22 dst_sel:DWORD dst_unused:UNUSED_PAD src0_sel:WORD_1 src1_sel:DWORD
	v_add_f16_e32 v72, v73, v72
	v_fma_f16 v73, v63, s16, -v137
	v_add_f16_e32 v58, v59, v58
	v_fma_f16 v59, v61, s8, -v154
	v_pk_add_f16 v19, v19, v20
	v_fma_f16 v166, v39, s14, -v165
	v_add_f16_e32 v72, v73, v72
	v_fma_f16 v73, v64, s15, -v138
	v_add_f16_e32 v58, v59, v58
	v_fma_f16 v59, v63, s9, -v155
	v_pk_add_f16 v19, v19, v21
	v_add_f16_e32 v160, v166, v160
	v_mul_f16_sdwa v166, v56, s21 dst_sel:DWORD dst_unused:UNUSED_PAD src0_sel:WORD_1 src1_sel:DWORD
	v_add_f16_e32 v72, v73, v72
	v_fma_f16 v73, v33, s18, v141
	v_add_f16_e32 v58, v59, v58
	v_fma_f16 v59, v64, s17, -v156
	v_pk_add_f16 v19, v19, v22
	v_fma_f16 v167, v38, s9, -v166
	v_add_f16_e32 v73, v11, v73
	v_fma_f16 v74, v34, s14, v143
	v_add_f16_e32 v58, v59, v58
	s_mov_b32 s3, 0x3b7639e9
	v_fma_f16 v60, v65, s18, -v157
	v_pk_add_f16 v17, v19, v17
	v_add_f16_e32 v160, v167, v160
	v_mul_f16_sdwa v167, v35, s20 dst_sel:DWORD dst_unused:UNUSED_PAD src0_sel:WORD_1 src1_sel:DWORD
	v_add_f16_e32 v73, v74, v73
	v_fma_f16 v74, v32, s8, v144
	v_pk_mul_f16 v61, v33, s3
	s_mov_b32 s3, 0xb964b5c8
	s_mov_b32 s20, 0x39e92de8
	v_add_f16_e32 v58, v60, v58
	s_mov_b32 s21, 0x3722b8d2
	v_fma_f16 v62, v62, s15, -v158
	v_fma_f16 v33, v33, s15, v159
	v_pk_add_f16 v17, v17, v18
	v_add_f16_e32 v73, v74, v73
	v_fma_f16 v74, v36, s17, v145
	v_pk_mul_f16 v60, v34, s20
	s_mov_b32 s20, 0xbbf7b964
	v_pk_mul_f16 v63, v32, s21
	s_mov_b32 s21, 0xba62bb29
	s_mov_b32 s22, 0x2de8bbdd
	v_add_f16_e32 v58, v62, v58
	v_pk_fma_f16 v62, v40, s3, v61 op_sel:[0,0,1] op_sel_hi:[1,1,0]
	v_pk_fma_f16 v40, v40, s3, v61 op_sel:[0,0,1] op_sel_hi:[1,1,0] neg_lo:[1,0,0] neg_hi:[1,0,0]
	v_fma_f16 v34, v34, s16, v161
	v_add_f16_e32 v33, v11, v33
	v_pk_add_f16 v13, v17, v13
	v_add_f16_e32 v73, v74, v73
	v_fma_f16 v74, v37, s16, v146
	v_pk_fma_f16 v61, v41, s20, v60 op_sel:[0,0,1] op_sel_hi:[1,1,0]
	v_pk_fma_f16 v41, v41, s20, v60 op_sel:[0,0,1] op_sel_hi:[1,1,0] neg_lo:[1,0,0] neg_hi:[1,0,0]
	v_pk_fma_f16 v60, v42, s21, v63 op_sel:[0,0,1] op_sel_hi:[1,1,0]
	v_pk_fma_f16 v42, v42, s21, v63 op_sel:[0,0,1] op_sel_hi:[1,1,0] neg_lo:[1,0,0] neg_hi:[1,0,0]
	v_pk_mul_f16 v63, v36, s22
	s_mov_b32 s3, 0xb1e1bbf7
	v_add_f16_e32 v33, v34, v33
	v_alignbit_b32 v34, v11, v11, 16
	v_pk_add_f16 v13, v13, v14
	v_bfi_b32 v14, s2, v62, v40
	v_add_f16_e32 v73, v74, v73
	v_fma_f16 v74, v39, s15, v147
	v_pk_fma_f16 v64, v52, s3, v63 op_sel:[0,0,1] op_sel_hi:[1,1,0]
	v_pk_fma_f16 v52, v52, s3, v63 op_sel:[0,0,1] op_sel_hi:[1,1,0] neg_lo:[1,0,0] neg_hi:[1,0,0]
	s_mov_b32 s3, 0xb461bacd
	v_pk_add_f16 v13, v13, v15
	v_pk_add_f16 v14, v34, v14
	v_bfi_b32 v15, s2, v61, v41
	v_add_f16_e32 v73, v74, v73
	v_fma_f16 v74, v38, s19, v148
	s_mov_b32 s20, 0x3836bbb2
	v_pk_mul_f16 v63, v37, s3
	s_mov_b32 s3, 0xb8d2b461
	v_pk_add_f16 v14, v15, v14
	v_bfi_b32 v15, s2, v60, v42
	v_add_f16_e32 v73, v74, v73
	v_fma_f16 v74, v51, s9, v149
	v_fma_f16 v59, v65, s19, -v139
	v_pk_fma_f16 v65, v53, s20, v63 op_sel:[0,0,1] op_sel_hi:[1,1,0]
	v_pk_fma_f16 v53, v53, s20, v63 op_sel:[0,0,1] op_sel_hi:[1,1,0] neg_lo:[1,0,0] neg_hi:[1,0,0]
	s_mov_b32 s20, 0x3bb2ba62
	v_pk_mul_f16 v63, v39, s3
	s_mov_b32 s3, 0xbacd3722
	v_pk_add_f16 v14, v15, v14
	v_bfi_b32 v15, s2, v64, v52
	v_add_f16_e32 v73, v74, v73
	v_pk_fma_f16 v74, v55, s20, v63 op_sel:[0,0,1] op_sel_hi:[1,1,0]
	v_pk_fma_f16 v55, v55, s20, v63 op_sel:[0,0,1] op_sel_hi:[1,1,0] neg_lo:[1,0,0] neg_hi:[1,0,0]
	s_mov_b32 s20, 0x3b29b836
	v_pk_mul_f16 v63, v38, s3
	v_fma_f16 v32, v32, s18, v162
	v_pk_add_f16 v14, v15, v14
	v_bfi_b32 v15, s2, v65, v53
	v_pk_fma_f16 v75, v56, s20, v63 op_sel:[0,0,1] op_sel_hi:[1,1,0]
	v_pk_fma_f16 v56, v56, s20, v63 op_sel:[0,0,1] op_sel_hi:[1,1,0] neg_lo:[1,0,0] neg_hi:[1,0,0]
	v_add_f16_e32 v32, v32, v33
	s_mov_b32 s3, 0xbbdd3b76
	v_fma_f16 v36, v36, s19, v163
	v_pk_add_f16 v14, v15, v14
	v_bfi_b32 v15, s2, v74, v55
	v_pk_mul_f16 v63, v51, s3
	s_mov_b32 s3, 0x35c8b1e1
	v_add_f16_e32 v32, v36, v32
	v_fma_f16 v37, v37, s17, v164
	v_pk_add_f16 v14, v15, v14
	v_bfi_b32 v15, s2, v75, v56
	v_pk_add_f16 v11, v11, v43
	v_add_f16_e32 v32, v37, v32
	v_pk_fma_f16 v37, v35, s3, v63 op_sel:[0,0,1] op_sel_hi:[1,1,0] neg_lo:[1,0,0] neg_hi:[1,0,0]
	v_fma_f16 v39, v39, s14, v165
	v_pk_add_f16 v14, v15, v14
	v_pk_fma_f16 v15, v35, s3, v63 op_sel:[0,0,1] op_sel_hi:[1,1,0]
	v_pk_add_f16 v11, v44, v11
	v_fma_f16 v168, v51, s8, -v167
	v_add_f16_e32 v32, v39, v32
	v_fma_f16 v38, v38, s9, v166
	v_bfi_b32 v15, s2, v15, v37
	v_pk_add_f16 v11, v45, v11
	v_add_f16_e32 v160, v168, v160
	v_add_f16_e32 v32, v38, v32
	v_fma_f16 v38, v51, s8, v167
	v_pk_add_f16 v14, v15, v14
	v_pk_add_f16 v11, v46, v11
	v_add_f16_e32 v32, v38, v32
	v_lshl_add_u32 v38, v5, 6, v0
	v_alignbit_b32 v15, v151, v14, 16
	v_pack_b32_f16 v14, v160, v14
	v_pk_add_f16 v11, v47, v11
	v_pk_add_f16 v76, v34, v62
	ds_write2_b32 v38, v14, v15 offset0:1 offset1:2
	v_pack_b32_f16 v14, v124, v115
	v_pack_b32_f16 v15, v142, v133
	v_pk_add_f16 v11, v48, v11
	v_pk_add_f16 v76, v61, v76
	ds_write2_b32 v38, v15, v14 offset0:3 offset1:4
	v_pack_b32_f16 v12, v25, v12
	v_pack_b32_f16 v14, v106, v97
	v_pk_add_f16 v11, v49, v11
	v_pk_mul_f16 v36, v35, s3
	v_pk_add_f16 v76, v60, v76
	ds_write2_b32 v38, v14, v12 offset0:5 offset1:6
	v_pk_add_f16 v11, v50, v11
	v_pack_b32_f16 v12, v57, v54
	s_mov_b32 s3, 0x5040100
	v_pk_add_f16 v76, v64, v76
	ds_write2_b32 v38, v12, v11 offset0:7 offset1:8
	v_pack_b32_f16 v11, v67, v66
	v_perm_b32 v12, v28, v27, s3
	v_pk_add_f16 v76, v65, v76
	v_add_f16_e32 v77, v34, v40
	v_pk_add_f16 v13, v13, v16
	ds_write2_b32 v38, v12, v11 offset0:9 offset1:10
	v_pack_b32_f16 v11, v69, v68
	v_pack_b32_f16 v12, v24, v26
	v_mul_f16_e32 v33, 0xb836, v35
	v_pk_add_f16 v76, v74, v76
	v_add_f16_e32 v77, v41, v77
	v_pk_add_f16 v13, v13, v31
	ds_write2_b32 v38, v12, v11 offset0:11 offset1:12
	v_pack_b32_f16 v11, v71, v70
	v_add_f16_e32 v77, v42, v77
	ds_write2_b32 v38, v13, v11 offset1:13
	v_bfi_b32 v11, s2, v33, v76
	v_add_f16_e32 v77, v52, v77
	v_pk_add_f16 v11, v140, v11 neg_lo:[0,1] neg_hi:[0,1]
	v_pk_add_f16 v12, v75, v76
	v_add_f16_e32 v77, v53, v77
	v_bfi_b32 v11, s2, v11, v12
	v_pack_b32_f16 v12, v59, v63
	v_bfi_b32 v13, s2, v72, v36
	v_add_f16_e32 v77, v55, v77
	v_pk_add_f16 v12, v12, v13
	v_add_f16_e32 v77, v56, v77
	v_pk_add_f16 v11, v11, v12
	v_add_f16_e32 v77, v37, v77
	v_alignbit_b32 v12, v58, v11, 16
	v_pack_b32_f16 v11, v73, v11
	ds_write2_b32 v38, v11, v12 offset0:14 offset1:15
	v_pack_b32_f16 v11, v32, v77
	ds_write_b32 v38, v11 offset:64
.LBB0_23:
	s_or_b64 exec, exec, s[6:7]
	s_movk_i32 s2, 0xf1
	v_mul_lo_u16_sdwa v11, v5, s2 dst_sel:DWORD dst_unused:UNUSED_PAD src0_sel:BYTE_0 src1_sel:DWORD
	v_lshrrev_b16_e32 v31, 12, v11
	v_mul_lo_u16_e32 v11, 17, v31
	v_sub_u16_e32 v32, v5, v11
	v_mov_b32_e32 v11, 5
	v_lshlrev_b32_sdwa v19, v11, v32 dst_sel:DWORD dst_unused:UNUSED_PAD src0_sel:DWORD src1_sel:BYTE_0
	s_waitcnt lgkmcnt(0)
	s_barrier
	global_load_dwordx4 v[11:14], v19, s[12:13]
	global_load_dwordx4 v[15:18], v19, s[12:13] offset:16
	ds_read2_b32 v[21:22], v0 offset1:102
	ds_read2_b32 v[19:20], v29 offset0:76 offset1:178
	ds_read2_b32 v[23:24], v30 offset0:152 offset1:254
	;; [unrolled: 1-line block ×3, first 2 shown]
	ds_read_b32 v30, v0 offset:3264
	s_waitcnt lgkmcnt(4)
	v_lshrrev_b32_e32 v36, 16, v22
	s_waitcnt lgkmcnt(3)
	v_lshrrev_b32_e32 v37, 16, v19
	v_lshrrev_b32_e32 v38, 16, v20
	s_waitcnt lgkmcnt(1)
	v_lshrrev_b32_e32 v33, 16, v25
	s_waitcnt lgkmcnt(0)
	v_lshrrev_b32_e32 v35, 16, v30
	v_lshrrev_b32_e32 v34, 16, v26
	;; [unrolled: 1-line block ×4, first 2 shown]
	s_movk_i32 s7, 0x3a21
	v_lshrrev_b32_e32 v41, 16, v21
	s_movk_i32 s2, 0x3be1
	s_movk_i32 s8, 0x318f
	;; [unrolled: 1-line block ×4, first 2 shown]
	s_mov_b32 s9, 0xbb84
	s_mov_b32 s14, 0xb924
	s_waitcnt vmcnt(0)
	s_barrier
	v_mul_f16_sdwa v42, v11, v36 dst_sel:DWORD dst_unused:UNUSED_PAD src0_sel:WORD_1 src1_sel:DWORD
	v_mul_f16_sdwa v43, v11, v22 dst_sel:DWORD dst_unused:UNUSED_PAD src0_sel:WORD_1 src1_sel:DWORD
	v_mul_f16_sdwa v56, v35, v18 dst_sel:DWORD dst_unused:UNUSED_PAD src0_sel:DWORD src1_sel:WORD_1
	v_mul_f16_sdwa v57, v30, v18 dst_sel:DWORD dst_unused:UNUSED_PAD src0_sel:DWORD src1_sel:WORD_1
	v_mul_f16_sdwa v44, v12, v37 dst_sel:DWORD dst_unused:UNUSED_PAD src0_sel:WORD_1 src1_sel:DWORD
	v_mul_f16_sdwa v45, v12, v19 dst_sel:DWORD dst_unused:UNUSED_PAD src0_sel:WORD_1 src1_sel:DWORD
	;; [unrolled: 1-line block ×3, first 2 shown]
	v_mul_f16_sdwa v52, v33, v16 dst_sel:DWORD dst_unused:UNUSED_PAD src0_sel:DWORD src1_sel:WORD_1
	v_mul_f16_sdwa v53, v25, v16 dst_sel:DWORD dst_unused:UNUSED_PAD src0_sel:DWORD src1_sel:WORD_1
	;; [unrolled: 1-line block ×4, first 2 shown]
	v_fma_f16 v22, v11, v22, -v42
	v_fma_f16 v11, v11, v36, v43
	v_fma_f16 v30, v30, v18, -v56
	v_fma_f16 v18, v35, v18, v57
	v_mul_f16_sdwa v47, v13, v20 dst_sel:DWORD dst_unused:UNUSED_PAD src0_sel:WORD_1 src1_sel:DWORD
	v_mul_f16_sdwa v48, v14, v39 dst_sel:DWORD dst_unused:UNUSED_PAD src0_sel:WORD_1 src1_sel:DWORD
	;; [unrolled: 1-line block ×5, first 2 shown]
	v_fma_f16 v19, v12, v19, -v44
	v_fma_f16 v12, v12, v37, v45
	v_fma_f16 v20, v13, v20, -v46
	v_fma_f16 v25, v25, v16, -v52
	v_fma_f16 v16, v33, v16, v53
	v_fma_f16 v26, v26, v17, -v54
	v_fma_f16 v17, v34, v17, v55
	v_add_f16_e32 v33, v22, v30
	v_add_f16_e32 v34, v11, v18
	v_sub_f16_e32 v22, v22, v30
	v_sub_f16_e32 v11, v11, v18
	v_fma_f16 v13, v13, v38, v47
	v_fma_f16 v23, v14, v23, -v48
	v_fma_f16 v14, v14, v39, v49
	v_fma_f16 v24, v15, v24, -v50
	v_fma_f16 v15, v15, v40, v51
	v_add_f16_e32 v35, v19, v26
	v_add_f16_e32 v36, v12, v17
	;; [unrolled: 1-line block ×3, first 2 shown]
	v_sub_f16_e32 v18, v19, v26
	v_sub_f16_e32 v12, v12, v17
	;; [unrolled: 1-line block ×3, first 2 shown]
	v_mul_f16_e32 v19, 0x3924, v22
	v_mul_f16_e32 v20, 0x3924, v11
	v_fma_f16 v39, v33, s7, v21
	v_fma_f16 v40, v34, s7, v41
	v_add_f16_e32 v38, v13, v16
	v_sub_f16_e32 v13, v13, v16
	v_fma_f16 v19, v18, s2, v19
	v_fma_f16 v20, v12, s2, v20
	;; [unrolled: 1-line block ×4, first 2 shown]
	v_sub_f16_e32 v16, v23, v24
	v_sub_f16_e32 v25, v14, v15
	v_add_f16_e32 v26, v23, v24
	v_add_f16_e32 v30, v14, v15
	v_fma_f16 v19, v17, s3, v19
	v_fma_f16 v20, v13, s3, v20
	v_fma_f16 v39, v37, -0.5, v39
	v_fma_f16 v40, v38, -0.5, v40
	v_fma_f16 v42, v16, s6, v19
	v_fma_f16 v19, v25, s6, v20
	;; [unrolled: 1-line block ×4, first 2 shown]
	v_sub_f16_e32 v39, v39, v42
	v_add_f16_e32 v40, v19, v20
	v_fma_f16 v20, v42, 2.0, v39
	v_mul_f16_e32 v42, 0xb924, v16
	v_mul_f16_e32 v43, 0xb924, v25
	v_fma_f16 v42, v22, s2, v42
	v_fma_f16 v43, v11, s2, v43
	s_mov_b32 s2, 0xbaee
	v_add_f16_e32 v46, v16, v22
	v_mul_f16_e32 v16, 0x3be1, v16
	v_fma_f16 v43, v13, s2, v43
	v_add_f16_e32 v47, v25, v11
	v_mul_f16_e32 v25, 0x3be1, v25
	v_fma_f16 v16, v18, s14, -v16
	v_fma_f16 v43, v12, s6, v43
	v_sub_f16_e32 v47, v47, v12
	v_add_f16_e32 v53, v36, v34
	v_fma_f16 v12, v12, s14, -v25
	v_fma_f16 v16, v17, s3, v16
	v_fma_f16 v12, v13, s3, v12
	;; [unrolled: 1-line block ×3, first 2 shown]
	v_add_f16_e32 v16, v38, v53
	v_add_f16_e32 v52, v35, v33
	;; [unrolled: 1-line block ×3, first 2 shown]
	v_fma_f16 v44, v26, s7, v21
	v_fma_f16 v45, v30, s7, v41
	;; [unrolled: 1-line block ×3, first 2 shown]
	v_add_f16_e32 v12, v37, v52
	v_add_f16_e32 v14, v15, v14
	v_fma_f16 v15, v35, s7, v21
	v_fma_f16 v16, v36, s7, v41
	;; [unrolled: 1-line block ×5, first 2 shown]
	v_add_f16_e32 v12, v23, v12
	v_fma_f16 v15, v26, s8, v15
	v_fma_f16 v16, v30, s8, v16
	v_fma_f16 v42, v18, s6, v42
	v_fma_f16 v44, v37, -0.5, v44
	v_fma_f16 v45, v38, -0.5, v45
	v_sub_f16_e32 v46, v46, v18
	v_add_f16_e32 v50, v37, v21
	v_add_f16_e32 v51, v38, v41
	;; [unrolled: 1-line block ×5, first 2 shown]
	v_fma_f16 v15, v37, -0.5, v15
	v_fma_f16 v16, v38, -0.5, v16
	v_mov_b32_e32 v18, 2
	v_fma_f16 v44, v35, s9, v44
	v_fma_f16 v45, v36, s9, v45
	v_fma_f16 v50, v54, -0.5, v50
	v_fma_f16 v51, v55, -0.5, v51
	v_add_f16_e32 v12, v21, v12
	v_add_f16_e32 v14, v41, v14
	v_fma_f16 v15, v33, s9, v15
	v_fma_f16 v16, v34, s9, v16
	v_mul_u32_u24_e32 v17, 0x264, v31
	v_lshlrev_b32_sdwa v18, v18, v32 dst_sel:DWORD dst_unused:UNUSED_PAD src0_sel:DWORD src1_sel:BYTE_0
	v_add_f16_e32 v44, v43, v44
	v_sub_f16_e32 v45, v45, v42
	v_mul_f16_e32 v48, 0x3aee, v46
	v_mul_f16_e32 v49, 0x3aee, v47
	v_fma_f16 v47, v47, s3, v50
	v_fma_f16 v46, v46, s2, v51
	v_add_f16_e32 v15, v11, v15
	v_sub_f16_e32 v16, v16, v13
	v_add3_u32 v17, 0, v17, v18
	v_pack_b32_f16 v12, v12, v14
	v_pack_b32_f16 v14, v40, v39
	v_fma_f16 v11, v11, -2.0, v15
	v_fma_f16 v13, v13, 2.0, v16
	ds_write2_b32 v17, v12, v14 offset1:17
	v_pack_b32_f16 v12, v44, v45
	v_pack_b32_f16 v14, v47, v46
	v_fma_f16 v43, v43, -2.0, v44
	v_fma_f16 v42, v42, 2.0, v45
	v_fma_f16 v49, v49, -2.0, v47
	v_fma_f16 v48, v48, 2.0, v46
	ds_write2_b32 v17, v12, v14 offset0:34 offset1:51
	v_pack_b32_f16 v12, v15, v16
	v_pack_b32_f16 v11, v11, v13
	v_fma_f16 v19, v19, -2.0, v40
	ds_write2_b32 v17, v12, v11 offset0:68 offset1:85
	v_pack_b32_f16 v11, v49, v48
	v_pack_b32_f16 v12, v43, v42
	ds_write2_b32 v17, v11, v12 offset0:102 offset1:119
	v_pack_b32_f16 v11, v19, v20
	v_add_u32_e32 v13, 0x600, v0
	ds_write_b32 v17, v11 offset:544
	s_waitcnt lgkmcnt(0)
	s_barrier
	ds_read2_b32 v[11:12], v0 offset1:102
	ds_read2_b32 v[15:16], v13 offset0:75 offset1:177
	ds_read2_b32 v[13:14], v29 offset0:76 offset1:178
	;; [unrolled: 1-line block ×3, first 2 shown]
	s_and_saveexec_b64 s[2:3], s[0:1]
	s_cbranch_execz .LBB0_25
; %bb.24:
	ds_read_b32 v19, v0 offset:1632
	ds_read_b32 v27, v0 offset:3468
	s_waitcnt lgkmcnt(1)
	v_lshrrev_b32_e32 v20, 16, v19
	s_waitcnt lgkmcnt(0)
	v_lshrrev_b32_e32 v28, 16, v27
.LBB0_25:
	s_or_b64 exec, exec, s[2:3]
	v_add_u32_e32 v21, 0x66, v5
	v_subrev_u32_e32 v6, 51, v5
	v_add_u32_e32 v26, 0x132, v5
	v_mov_b32_e32 v29, s13
	v_add_co_u32_e64 v22, s[2:3], s12, v7
	v_cndmask_b32_e64 v6, v6, v21, s[0:1]
	v_mov_b32_e32 v7, 0
	s_movk_i32 s6, 0x358b
	v_addc_co_u32_e64 v23, s[2:3], v29, v8, s[2:3]
	v_lshlrev_b64 v[24:25], 2, v[6:7]
	v_mul_u32_u24_sdwa v8, v26, s6 dst_sel:DWORD dst_unused:UNUSED_PAD src0_sel:WORD_0 src1_sel:DWORD
	v_lshrrev_b32_e32 v8, 21, v8
	v_add_co_u32_e64 v24, s[2:3], s12, v24
	v_mul_lo_u16_e32 v8, 0x99, v8
	v_addc_co_u32_e64 v25, s[2:3], v29, v25, s[2:3]
	v_sub_u16_e32 v8, v26, v8
	global_load_dword v22, v[22:23], off offset:544
	v_lshlrev_b32_e32 v23, 2, v8
	v_add_co_u32_e64 v8, s[2:3], s12, v9
	v_addc_co_u32_e64 v9, s[2:3], v29, v10, s[2:3]
	global_load_dword v26, v23, s[12:13] offset:544
	global_load_dword v10, v[8:9], off offset:748
	global_load_dword v29, v[24:25], off offset:544
	v_mov_b32_e32 v9, 0x4c8
	v_cmp_lt_u32_e64 s[2:3], 50, v5
	v_cndmask_b32_e64 v9, 0, v9, s[2:3]
	v_lshlrev_b32_e32 v6, 2, v6
	v_add3_u32 v6, 0, v9, v6
	v_add_u32_e32 v9, 0, v23
	s_mov_b32 s7, 0xffff
	s_waitcnt vmcnt(0) lgkmcnt(0)
	s_barrier
	v_add_u32_e32 v8, 0x400, v0
	v_add_u32_e32 v9, 0x800, v9
	v_pk_mul_f16 v23, v22, v15 op_sel:[0,1]
	v_pk_fma_f16 v24, v22, v15, v23 op_sel:[0,0,1] op_sel_hi:[1,1,0] neg_lo:[0,0,1] neg_hi:[0,0,1]
	v_pk_fma_f16 v15, v22, v15, v23 op_sel:[0,0,1] op_sel_hi:[1,0,0]
	v_bfi_b32 v15, s7, v24, v15
	v_pk_add_f16 v15, v11, v15 neg_lo:[0,1] neg_hi:[0,1]
	v_pk_fma_f16 v11, v11, 2.0, v15 op_sel_hi:[1,0,1] neg_lo:[0,0,1] neg_hi:[0,0,1]
	v_pk_mul_f16 v22, v26, v18 op_sel:[0,1]
	v_pk_mul_f16 v23, v10, v17 op_sel:[0,1]
	;; [unrolled: 1-line block ×3, first 2 shown]
	v_pk_fma_f16 v25, v26, v18, v22 op_sel:[0,0,1] op_sel_hi:[1,1,0] neg_lo:[0,0,1] neg_hi:[0,0,1]
	v_pk_fma_f16 v18, v26, v18, v22 op_sel:[0,0,1] op_sel_hi:[1,0,0]
	v_pk_fma_f16 v22, v10, v17, v23 op_sel:[0,0,1] op_sel_hi:[1,1,0] neg_lo:[0,0,1] neg_hi:[0,0,1]
	v_pk_fma_f16 v10, v10, v17, v23 op_sel:[0,0,1] op_sel_hi:[1,0,0]
	;; [unrolled: 2-line block ×3, first 2 shown]
	ds_write2_b32 v0, v11, v15 offset1:153
	v_bfi_b32 v15, s7, v17, v16
	v_bfi_b32 v11, s7, v25, v18
	;; [unrolled: 1-line block ×3, first 2 shown]
	v_pk_add_f16 v15, v12, v15 neg_lo:[0,1] neg_hi:[0,1]
	v_pk_add_f16 v11, v14, v11 neg_lo:[0,1] neg_hi:[0,1]
	;; [unrolled: 1-line block ×3, first 2 shown]
	v_pk_fma_f16 v12, v12, 2.0, v15 op_sel_hi:[1,0,1] neg_lo:[0,0,1] neg_hi:[0,0,1]
	v_pk_fma_f16 v14, v14, 2.0, v11 op_sel_hi:[1,0,1] neg_lo:[0,0,1] neg_hi:[0,0,1]
	;; [unrolled: 1-line block ×3, first 2 shown]
	ds_write2_b32 v6, v12, v15 offset1:153
	ds_write2_b32 v8, v13, v10 offset0:101 offset1:254
	ds_write2_b32 v9, v14, v11 offset0:100 offset1:253
	s_and_saveexec_b64 s[2:3], s[0:1]
	s_cbranch_execz .LBB0_27
; %bb.26:
	v_add_u32_e32 v6, 0x198, v5
	v_mul_u32_u24_sdwa v9, v6, s6 dst_sel:DWORD dst_unused:UNUSED_PAD src0_sel:WORD_0 src1_sel:DWORD
	v_lshrrev_b32_e32 v9, 21, v9
	v_mul_lo_u16_e32 v9, 0x99, v9
	v_sub_u16_e32 v6, v6, v9
	v_lshlrev_b32_e32 v6, 2, v6
	global_load_dword v9, v6, s[12:13] offset:544
	v_add_u32_e32 v6, 0, v6
	v_add_u32_e32 v6, 0x800, v6
	s_waitcnt vmcnt(0)
	v_mul_f16_sdwa v10, v28, v9 dst_sel:DWORD dst_unused:UNUSED_PAD src0_sel:DWORD src1_sel:WORD_1
	v_mul_f16_sdwa v11, v27, v9 dst_sel:DWORD dst_unused:UNUSED_PAD src0_sel:DWORD src1_sel:WORD_1
	v_fma_f16 v10, v27, v9, -v10
	v_fma_f16 v9, v28, v9, v11
	v_sub_f16_e32 v10, v19, v10
	v_sub_f16_e32 v9, v20, v9
	v_fma_f16 v11, v19, 2.0, -v10
	v_fma_f16 v12, v20, 2.0, -v9
	v_pack_b32_f16 v9, v10, v9
	v_pack_b32_f16 v10, v11, v12
	ds_write2_b32 v6, v10, v9 offset0:100 offset1:253
.LBB0_27:
	s_or_b64 exec, exec, s[2:3]
	v_lshlrev_b32_e32 v6, 1, v5
	v_lshlrev_b64 v[9:10], 2, v[6:7]
	v_lshlrev_b32_e32 v11, 1, v21
	v_mov_b32_e32 v12, v7
	v_mov_b32_e32 v13, s13
	v_add_co_u32_e64 v9, s[0:1], s12, v9
	v_lshlrev_b64 v[11:12], 2, v[11:12]
	v_addc_co_u32_e64 v10, s[0:1], v13, v10, s[0:1]
	v_add_u32_e32 v6, 0x198, v6
	v_add_co_u32_e64 v11, s[0:1], s12, v11
	v_lshlrev_b64 v[6:7], 2, v[6:7]
	v_addc_co_u32_e64 v12, s[0:1], v13, v12, s[0:1]
	v_add_co_u32_e64 v6, s[0:1], s12, v6
	s_waitcnt lgkmcnt(0)
	s_barrier
	global_load_dwordx2 v[9:10], v[9:10], off offset:1156
	v_addc_co_u32_e64 v7, s[0:1], v13, v7, s[0:1]
	global_load_dwordx2 v[11:12], v[11:12], off offset:1156
	v_add_u32_e32 v21, 0x200, v0
	global_load_dwordx2 v[6:7], v[6:7], off offset:1156
	ds_read2_b32 v[13:14], v0 offset1:102
	v_add_u32_e32 v22, 0x800, v0
	ds_read2_b32 v[15:16], v8 offset0:152 offset1:254
	ds_read_b32 v23, v0 offset:3264
	ds_read2_b32 v[17:18], v21 offset0:76 offset1:178
	ds_read2_b32 v[19:20], v22 offset0:100 offset1:202
	s_movk_i32 s0, 0x3aee
	s_mov_b32 s1, 0xbaee
	s_waitcnt lgkmcnt(3)
	v_lshrrev_b32_e32 v27, 16, v15
	s_waitcnt lgkmcnt(1)
	v_lshrrev_b32_e32 v30, 16, v18
	;; [unrolled: 2-line block ×3, first 2 shown]
	v_lshrrev_b32_e32 v28, 16, v16
	v_lshrrev_b32_e32 v32, 16, v20
	;; [unrolled: 1-line block ×6, first 2 shown]
	s_waitcnt vmcnt(0)
	s_barrier
	v_mul_f16_sdwa v33, v9, v30 dst_sel:DWORD dst_unused:UNUSED_PAD src0_sel:WORD_1 src1_sel:DWORD
	v_mul_f16_sdwa v35, v10, v31 dst_sel:DWORD dst_unused:UNUSED_PAD src0_sel:WORD_1 src1_sel:DWORD
	;; [unrolled: 1-line block ×8, first 2 shown]
	v_fma_f16 v18, v9, v18, -v33
	v_fma_f16 v19, v10, v19, -v35
	;; [unrolled: 1-line block ×3, first 2 shown]
	v_fma_f16 v11, v11, v27, v38
	v_mul_f16_sdwa v27, v6, v28 dst_sel:DWORD dst_unused:UNUSED_PAD src0_sel:WORD_1 src1_sel:DWORD
	v_fma_f16 v9, v9, v30, v34
	v_fma_f16 v10, v10, v31, v36
	v_fma_f16 v20, v12, v20, -v39
	v_fma_f16 v12, v12, v32, v40
	v_mul_f16_sdwa v30, v6, v16 dst_sel:DWORD dst_unused:UNUSED_PAD src0_sel:WORD_1 src1_sel:DWORD
	v_mul_f16_sdwa v31, v26, v7 dst_sel:DWORD dst_unused:UNUSED_PAD src0_sel:DWORD src1_sel:WORD_1
	v_mul_f16_sdwa v32, v23, v7 dst_sel:DWORD dst_unused:UNUSED_PAD src0_sel:DWORD src1_sel:WORD_1
	v_fma_f16 v16, v6, v16, -v27
	v_add_f16_e32 v27, v18, v19
	v_fma_f16 v6, v6, v28, v30
	v_fma_f16 v23, v23, v7, -v31
	v_fma_f16 v7, v26, v7, v32
	v_add_f16_e32 v26, v13, v18
	v_sub_f16_e32 v28, v9, v10
	v_fma_f16 v13, v27, -0.5, v13
	v_add_f16_e32 v30, v24, v9
	v_add_f16_e32 v9, v9, v10
	v_sub_f16_e32 v18, v18, v19
	v_add_f16_e32 v31, v14, v15
	v_sub_f16_e32 v33, v11, v12
	v_add_f16_e32 v19, v26, v19
	v_fma_f16 v26, v28, s0, v13
	v_fma_f16 v13, v28, s1, v13
	v_add_f16_e32 v28, v25, v11
	v_add_f16_e32 v11, v11, v12
	;; [unrolled: 1-line block ×3, first 2 shown]
	v_fma_f16 v9, v9, -0.5, v24
	v_add_f16_e32 v24, v31, v20
	v_add_f16_e32 v28, v28, v12
	v_fma_f16 v11, v11, -0.5, v25
	v_sub_f16_e32 v12, v15, v20
	v_add_f16_e32 v20, v16, v23
	v_fma_f16 v14, v32, -0.5, v14
	v_fma_f16 v15, v12, s1, v11
	v_fma_f16 v11, v12, s0, v11
	v_add_f16_e32 v12, v17, v16
	v_fma_f16 v17, v20, -0.5, v17
	v_sub_f16_e32 v20, v6, v7
	v_fma_f16 v27, v18, s1, v9
	v_fma_f16 v9, v18, s0, v9
	;; [unrolled: 1-line block ×6, first 2 shown]
	v_add_f16_e32 v20, v29, v6
	v_add_f16_e32 v6, v6, v7
	;; [unrolled: 1-line block ×5, first 2 shown]
	v_fma_f16 v6, v6, -0.5, v29
	v_sub_f16_e32 v7, v16, v23
	v_pack_b32_f16 v9, v13, v9
	v_pack_b32_f16 v11, v14, v11
	v_fma_f16 v16, v7, s1, v6
	v_fma_f16 v6, v7, s0, v6
	v_pack_b32_f16 v7, v19, v10
	v_pack_b32_f16 v10, v26, v27
	;; [unrolled: 1-line block ×3, first 2 shown]
	ds_write2_b32 v22, v9, v11 offset0:100 offset1:202
	v_pack_b32_f16 v9, v12, v20
	ds_write2_b32 v0, v7, v13 offset1:102
	v_pack_b32_f16 v7, v18, v15
	ds_write2_b32 v21, v9, v10 offset0:76 offset1:178
	v_pack_b32_f16 v9, v25, v16
	v_pack_b32_f16 v6, v17, v6
	ds_write2_b32 v8, v7, v9 offset0:152 offset1:254
	ds_write_b32 v0, v6 offset:3264
	s_waitcnt lgkmcnt(0)
	s_barrier
	s_and_saveexec_b64 s[0:1], vcc
	s_cbranch_execz .LBB0_29
; %bb.28:
	v_mul_lo_u32 v0, s5, v3
	v_mul_lo_u32 v6, s4, v4
	v_mad_u64_u32 v[3:4], s[0:1], s4, v3, 0
	v_lshl_add_u32 v9, v5, 2, 0
	ds_read2_b32 v[7:8], v9 offset1:102
	v_add3_u32 v4, v4, v6, v0
	v_lshlrev_b64 v[3:4], 2, v[3:4]
	v_mov_b32_e32 v0, s11
	v_add_co_u32_e32 v3, vcc, s10, v3
	v_addc_co_u32_e32 v4, vcc, v0, v4, vcc
	v_lshlrev_b64 v[0:1], 2, v[1:2]
	v_mov_b32_e32 v6, 0
	v_add_co_u32_e32 v10, vcc, v3, v0
	v_addc_co_u32_e32 v4, vcc, v4, v1, vcc
	v_lshlrev_b64 v[0:1], 2, v[5:6]
	v_add_u32_e32 v2, 0x200, v9
	v_add_co_u32_e32 v0, vcc, v10, v0
	v_addc_co_u32_e32 v1, vcc, v4, v1, vcc
	s_waitcnt lgkmcnt(0)
	global_store_dword v[0:1], v7, off
	v_add_u32_e32 v0, 0x66, v5
	v_mov_b32_e32 v1, v6
	v_lshlrev_b64 v[0:1], 2, v[0:1]
	ds_read2_b32 v[2:3], v2 offset0:76 offset1:178
	v_add_co_u32_e32 v0, vcc, v10, v0
	v_addc_co_u32_e32 v1, vcc, v4, v1, vcc
	global_store_dword v[0:1], v8, off
	v_add_u32_e32 v0, 0xcc, v5
	v_mov_b32_e32 v1, v6
	v_lshlrev_b64 v[0:1], 2, v[0:1]
	v_add_co_u32_e32 v0, vcc, v10, v0
	v_addc_co_u32_e32 v1, vcc, v4, v1, vcc
	s_waitcnt lgkmcnt(0)
	global_store_dword v[0:1], v2, off
	v_add_u32_e32 v0, 0x132, v5
	v_mov_b32_e32 v1, v6
	v_lshlrev_b64 v[0:1], 2, v[0:1]
	v_add_u32_e32 v2, 0x400, v9
	v_add_co_u32_e32 v0, vcc, v10, v0
	v_addc_co_u32_e32 v1, vcc, v4, v1, vcc
	global_store_dword v[0:1], v3, off
	v_add_u32_e32 v0, 0x198, v5
	v_mov_b32_e32 v1, v6
	ds_read2_b32 v[2:3], v2 offset0:152 offset1:254
	v_lshlrev_b64 v[0:1], 2, v[0:1]
	v_add_co_u32_e32 v0, vcc, v10, v0
	v_addc_co_u32_e32 v1, vcc, v4, v1, vcc
	s_waitcnt lgkmcnt(0)
	global_store_dword v[0:1], v2, off
	v_add_u32_e32 v0, 0x1fe, v5
	v_mov_b32_e32 v1, v6
	v_lshlrev_b64 v[0:1], 2, v[0:1]
	v_add_u32_e32 v2, 0x800, v9
	v_add_co_u32_e32 v0, vcc, v10, v0
	v_addc_co_u32_e32 v1, vcc, v4, v1, vcc
	global_store_dword v[0:1], v3, off
	v_add_u32_e32 v0, 0x264, v5
	v_mov_b32_e32 v1, v6
	ds_read2_b32 v[2:3], v2 offset0:100 offset1:202
	v_lshlrev_b64 v[0:1], 2, v[0:1]
	v_add_co_u32_e32 v0, vcc, v10, v0
	v_addc_co_u32_e32 v1, vcc, v4, v1, vcc
	s_waitcnt lgkmcnt(0)
	global_store_dword v[0:1], v2, off
	v_add_u32_e32 v0, 0x2ca, v5
	v_mov_b32_e32 v1, v6
	v_lshlrev_b64 v[0:1], 2, v[0:1]
	v_add_u32_e32 v5, 0x330, v5
	v_add_co_u32_e32 v0, vcc, v10, v0
	v_addc_co_u32_e32 v1, vcc, v4, v1, vcc
	ds_read_b32 v2, v9 offset:3264
	global_store_dword v[0:1], v3, off
	v_lshlrev_b64 v[0:1], 2, v[5:6]
	v_add_co_u32_e32 v0, vcc, v10, v0
	v_addc_co_u32_e32 v1, vcc, v4, v1, vcc
	s_waitcnt lgkmcnt(0)
	global_store_dword v[0:1], v2, off
.LBB0_29:
	s_endpgm
	.section	.rodata,"a",@progbits
	.p2align	6, 0x0
	.amdhsa_kernel fft_rtc_fwd_len918_factors_17_9_2_3_wgs_102_tpt_102_halfLds_half_op_CI_CI_unitstride_sbrr_C2R_dirReg
		.amdhsa_group_segment_fixed_size 0
		.amdhsa_private_segment_fixed_size 0
		.amdhsa_kernarg_size 104
		.amdhsa_user_sgpr_count 6
		.amdhsa_user_sgpr_private_segment_buffer 1
		.amdhsa_user_sgpr_dispatch_ptr 0
		.amdhsa_user_sgpr_queue_ptr 0
		.amdhsa_user_sgpr_kernarg_segment_ptr 1
		.amdhsa_user_sgpr_dispatch_id 0
		.amdhsa_user_sgpr_flat_scratch_init 0
		.amdhsa_user_sgpr_private_segment_size 0
		.amdhsa_uses_dynamic_stack 0
		.amdhsa_system_sgpr_private_segment_wavefront_offset 0
		.amdhsa_system_sgpr_workgroup_id_x 1
		.amdhsa_system_sgpr_workgroup_id_y 0
		.amdhsa_system_sgpr_workgroup_id_z 0
		.amdhsa_system_sgpr_workgroup_info 0
		.amdhsa_system_vgpr_workitem_id 0
		.amdhsa_next_free_vgpr 169
		.amdhsa_next_free_sgpr 32
		.amdhsa_reserve_vcc 1
		.amdhsa_reserve_flat_scratch 0
		.amdhsa_float_round_mode_32 0
		.amdhsa_float_round_mode_16_64 0
		.amdhsa_float_denorm_mode_32 3
		.amdhsa_float_denorm_mode_16_64 3
		.amdhsa_dx10_clamp 1
		.amdhsa_ieee_mode 1
		.amdhsa_fp16_overflow 0
		.amdhsa_exception_fp_ieee_invalid_op 0
		.amdhsa_exception_fp_denorm_src 0
		.amdhsa_exception_fp_ieee_div_zero 0
		.amdhsa_exception_fp_ieee_overflow 0
		.amdhsa_exception_fp_ieee_underflow 0
		.amdhsa_exception_fp_ieee_inexact 0
		.amdhsa_exception_int_div_zero 0
	.end_amdhsa_kernel
	.text
.Lfunc_end0:
	.size	fft_rtc_fwd_len918_factors_17_9_2_3_wgs_102_tpt_102_halfLds_half_op_CI_CI_unitstride_sbrr_C2R_dirReg, .Lfunc_end0-fft_rtc_fwd_len918_factors_17_9_2_3_wgs_102_tpt_102_halfLds_half_op_CI_CI_unitstride_sbrr_C2R_dirReg
                                        ; -- End function
	.section	.AMDGPU.csdata,"",@progbits
; Kernel info:
; codeLenInByte = 10756
; NumSgprs: 36
; NumVgprs: 169
; ScratchSize: 0
; MemoryBound: 0
; FloatMode: 240
; IeeeMode: 1
; LDSByteSize: 0 bytes/workgroup (compile time only)
; SGPRBlocks: 4
; VGPRBlocks: 42
; NumSGPRsForWavesPerEU: 36
; NumVGPRsForWavesPerEU: 169
; Occupancy: 1
; WaveLimiterHint : 1
; COMPUTE_PGM_RSRC2:SCRATCH_EN: 0
; COMPUTE_PGM_RSRC2:USER_SGPR: 6
; COMPUTE_PGM_RSRC2:TRAP_HANDLER: 0
; COMPUTE_PGM_RSRC2:TGID_X_EN: 1
; COMPUTE_PGM_RSRC2:TGID_Y_EN: 0
; COMPUTE_PGM_RSRC2:TGID_Z_EN: 0
; COMPUTE_PGM_RSRC2:TIDIG_COMP_CNT: 0
	.type	__hip_cuid_474833774a85cec0,@object ; @__hip_cuid_474833774a85cec0
	.section	.bss,"aw",@nobits
	.globl	__hip_cuid_474833774a85cec0
__hip_cuid_474833774a85cec0:
	.byte	0                               ; 0x0
	.size	__hip_cuid_474833774a85cec0, 1

	.ident	"AMD clang version 19.0.0git (https://github.com/RadeonOpenCompute/llvm-project roc-6.4.0 25133 c7fe45cf4b819c5991fe208aaa96edf142730f1d)"
	.section	".note.GNU-stack","",@progbits
	.addrsig
	.addrsig_sym __hip_cuid_474833774a85cec0
	.amdgpu_metadata
---
amdhsa.kernels:
  - .args:
      - .actual_access:  read_only
        .address_space:  global
        .offset:         0
        .size:           8
        .value_kind:     global_buffer
      - .offset:         8
        .size:           8
        .value_kind:     by_value
      - .actual_access:  read_only
        .address_space:  global
        .offset:         16
        .size:           8
        .value_kind:     global_buffer
      - .actual_access:  read_only
        .address_space:  global
        .offset:         24
        .size:           8
        .value_kind:     global_buffer
      - .actual_access:  read_only
        .address_space:  global
        .offset:         32
        .size:           8
        .value_kind:     global_buffer
      - .offset:         40
        .size:           8
        .value_kind:     by_value
      - .actual_access:  read_only
        .address_space:  global
        .offset:         48
        .size:           8
        .value_kind:     global_buffer
      - .actual_access:  read_only
        .address_space:  global
        .offset:         56
        .size:           8
        .value_kind:     global_buffer
      - .offset:         64
        .size:           4
        .value_kind:     by_value
      - .actual_access:  read_only
        .address_space:  global
        .offset:         72
        .size:           8
        .value_kind:     global_buffer
      - .actual_access:  read_only
        .address_space:  global
        .offset:         80
        .size:           8
        .value_kind:     global_buffer
      - .actual_access:  read_only
        .address_space:  global
        .offset:         88
        .size:           8
        .value_kind:     global_buffer
      - .actual_access:  write_only
        .address_space:  global
        .offset:         96
        .size:           8
        .value_kind:     global_buffer
    .group_segment_fixed_size: 0
    .kernarg_segment_align: 8
    .kernarg_segment_size: 104
    .language:       OpenCL C
    .language_version:
      - 2
      - 0
    .max_flat_workgroup_size: 102
    .name:           fft_rtc_fwd_len918_factors_17_9_2_3_wgs_102_tpt_102_halfLds_half_op_CI_CI_unitstride_sbrr_C2R_dirReg
    .private_segment_fixed_size: 0
    .sgpr_count:     36
    .sgpr_spill_count: 0
    .symbol:         fft_rtc_fwd_len918_factors_17_9_2_3_wgs_102_tpt_102_halfLds_half_op_CI_CI_unitstride_sbrr_C2R_dirReg.kd
    .uniform_work_group_size: 1
    .uses_dynamic_stack: false
    .vgpr_count:     169
    .vgpr_spill_count: 0
    .wavefront_size: 64
amdhsa.target:   amdgcn-amd-amdhsa--gfx906
amdhsa.version:
  - 1
  - 2
...

	.end_amdgpu_metadata
